;; amdgpu-corpus repo=ROCm/rocFFT kind=compiled arch=gfx1100 opt=O3
	.text
	.amdgcn_target "amdgcn-amd-amdhsa--gfx1100"
	.amdhsa_code_object_version 6
	.protected	bluestein_single_fwd_len5488_dim1_half_op_CI_CI ; -- Begin function bluestein_single_fwd_len5488_dim1_half_op_CI_CI
	.globl	bluestein_single_fwd_len5488_dim1_half_op_CI_CI
	.p2align	8
	.type	bluestein_single_fwd_len5488_dim1_half_op_CI_CI,@function
bluestein_single_fwd_len5488_dim1_half_op_CI_CI: ; @bluestein_single_fwd_len5488_dim1_half_op_CI_CI
; %bb.0:
	s_load_b128 s[16:19], s[0:1], 0x28
	v_mul_u32_u24_e32 v1, 0x14f, v0
	s_mov_b32 s2, exec_lo
	v_mov_b32_e32 v137, 0
	s_delay_alu instid0(VALU_DEP_2) | instskip(NEXT) | instid1(VALU_DEP_1)
	v_lshrrev_b32_e32 v1, 16, v1
	v_add_nc_u32_e32 v136, s15, v1
	s_waitcnt lgkmcnt(0)
	s_delay_alu instid0(VALU_DEP_1)
	v_cmpx_gt_u64_e64 s[16:17], v[136:137]
	s_cbranch_execz .LBB0_2
; %bb.1:
	s_clause 0x1
	s_load_b128 s[8:11], s[0:1], 0x18
	s_load_b128 s[4:7], s[0:1], 0x0
	v_mul_lo_u16 v1, 0xc4, v1
	s_load_b64 s[0:1], s[0:1], 0x38
	s_delay_alu instid0(VALU_DEP_1) | instskip(NEXT) | instid1(VALU_DEP_1)
	v_sub_nc_u16 v12, v0, v1
	v_and_b32_e32 v145, 0xffff, v12
	s_delay_alu instid0(VALU_DEP_1)
	v_lshlrev_b32_e32 v155, 2, v145
	s_waitcnt lgkmcnt(0)
	s_load_b128 s[12:15], s[8:9], 0x0
	global_load_b32 v152, v155, s[4:5]
	v_add_nc_u32_e32 v124, 0x600, v155
	v_add_nc_u32_e32 v161, 0xc00, v155
	;; [unrolled: 1-line block ×13, first 2 shown]
	s_waitcnt lgkmcnt(0)
	v_mad_u64_u32 v[0:1], null, s14, v136, 0
	v_mad_u64_u32 v[2:3], null, s12, v145, 0
	s_mul_i32 s3, s13, 0xc40
	s_mul_hi_u32 s8, s12, 0xc40
	s_mul_i32 s2, s12, 0xc40
	s_add_i32 s3, s8, s3
	v_add_co_u32 v90, s8, s4, v155
	s_delay_alu instid0(VALU_DEP_2) | instskip(SKIP_2) | instid1(VALU_DEP_2)
	v_mad_u64_u32 v[4:5], null, s15, v136, v[1:2]
	v_add_co_ci_u32_e64 v91, null, s5, 0, s8
	s_mul_i32 s8, s12, 0xffffb990
	v_mad_u64_u32 v[5:6], null, s13, v145, v[3:4]
	v_mov_b32_e32 v1, v4
	s_delay_alu instid0(VALU_DEP_1) | instskip(NEXT) | instid1(VALU_DEP_3)
	v_lshlrev_b64 v[0:1], 2, v[0:1]
	v_mov_b32_e32 v3, v5
	s_delay_alu instid0(VALU_DEP_2) | instskip(NEXT) | instid1(VALU_DEP_2)
	v_add_co_u32 v0, vcc_lo, s18, v0
	v_lshlrev_b64 v[2:3], 2, v[2:3]
	s_delay_alu instid0(VALU_DEP_4) | instskip(NEXT) | instid1(VALU_DEP_2)
	v_add_co_ci_u32_e32 v1, vcc_lo, s19, v1, vcc_lo
	v_add_co_u32 v0, vcc_lo, v0, v2
	s_delay_alu instid0(VALU_DEP_2) | instskip(NEXT) | instid1(VALU_DEP_2)
	v_add_co_ci_u32_e32 v1, vcc_lo, v1, v3, vcc_lo
	v_add_co_u32 v2, vcc_lo, v0, s2
	s_delay_alu instid0(VALU_DEP_2)
	v_add_co_ci_u32_e32 v3, vcc_lo, s3, v1, vcc_lo
	global_load_b32 v8, v[0:1], off
	global_load_b32 v149, v155, s[4:5] offset:3136
	global_load_b32 v9, v[2:3], off
	v_add_co_u32 v0, vcc_lo, 0x1000, v90
	v_add_co_ci_u32_e32 v1, vcc_lo, 0, v91, vcc_lo
	v_add_co_u32 v4, vcc_lo, v2, s2
	v_add_co_ci_u32_e32 v5, vcc_lo, s3, v3, vcc_lo
	global_load_b32 v146, v[0:1], off offset:2176
	global_load_b32 v10, v[4:5], off
	v_add_co_u32 v2, vcc_lo, 0x2000, v90
	v_add_co_ci_u32_e32 v3, vcc_lo, 0, v91, vcc_lo
	v_add_co_u32 v6, vcc_lo, v4, s2
	v_add_co_ci_u32_e32 v7, vcc_lo, s3, v5, vcc_lo
	v_add_co_u32 v4, vcc_lo, 0x3000, v90
	v_add_co_ci_u32_e32 v5, vcc_lo, 0, v91, vcc_lo
	global_load_b32 v141, v[2:3], off offset:1216
	global_load_b32 v11, v[6:7], off
	v_add_co_u32 v6, vcc_lo, v6, s2
	v_add_co_ci_u32_e32 v7, vcc_lo, s3, v7, vcc_lo
	global_load_b32 v126, v[4:5], off offset:256
	global_load_b32 v13, v[6:7], off
	v_add_co_u32 v6, vcc_lo, v6, s2
	v_add_co_ci_u32_e32 v7, vcc_lo, s3, v7, vcc_lo
	global_load_b32 v19, v[4:5], off offset:3392
	global_load_b32 v14, v[6:7], off
	s_clause 0xa
	global_load_b32 v139, v155, s[4:5] offset:3920
	global_load_b32 v144, v155, s[4:5] offset:784
	;; [unrolled: 1-line block ×4, first 2 shown]
	global_load_b32 v36, v[4:5], off offset:1040
	global_load_b32 v27, v[4:5], off offset:1824
	;; [unrolled: 1-line block ×7, first 2 shown]
	v_add_co_u32 v2, vcc_lo, v6, s2
	v_add_co_ci_u32_e32 v3, vcc_lo, s3, v7, vcc_lo
	s_mul_hi_u32 s4, s12, 0xffffb990
	s_mul_i32 s5, s13, 0xffffb990
	s_sub_i32 s4, s4, s12
	global_load_b32 v6, v[2:3], off
	s_add_i32 s4, s4, s5
	v_add_co_u32 v2, vcc_lo, v2, s8
	v_add_co_ci_u32_e32 v3, vcc_lo, s4, v3, vcc_lo
	s_delay_alu instid0(VALU_DEP_2) | instskip(NEXT) | instid1(VALU_DEP_2)
	v_add_co_u32 v4, vcc_lo, v2, s2
	v_add_co_ci_u32_e32 v5, vcc_lo, s3, v3, vcc_lo
	global_load_b32 v18, v[2:3], off
	s_clause 0x2
	global_load_b32 v140, v[0:1], off offset:2960
	global_load_b32 v31, v[0:1], off offset:3744
	;; [unrolled: 1-line block ×3, first 2 shown]
	s_waitcnt vmcnt(27)
	v_lshrrev_b32_e32 v17, 16, v152
	s_waitcnt vmcnt(26)
	v_lshrrev_b32_e32 v7, 16, v8
	;; [unrolled: 2-line block ×3, first 2 shown]
	v_mul_f16_e32 v15, v17, v8
	s_waitcnt vmcnt(24)
	v_lshrrev_b32_e32 v16, 16, v9
	v_mul_f16_e32 v17, v17, v7
	v_mul_f16_e32 v2, v20, v9
	v_fma_f16 v3, v152, v7, -v15
	s_delay_alu instid0(VALU_DEP_4) | instskip(NEXT) | instid1(VALU_DEP_4)
	v_mul_f16_e32 v7, v20, v16
	v_fmac_f16_e64 v17, v152, v8
	s_delay_alu instid0(VALU_DEP_4)
	v_fma_f16 v2, v149, v16, -v2
	s_waitcnt vmcnt(23)
	v_lshrrev_b32_e32 v15, 16, v146
	v_fmac_f16_e64 v7, v149, v9
	v_pack_b32_f16 v8, v17, v3
	s_waitcnt vmcnt(22)
	v_lshrrev_b32_e32 v3, 16, v10
	v_mul_f16_e32 v9, v15, v10
	v_pack_b32_f16 v7, v7, v2
	s_delay_alu instid0(VALU_DEP_2)
	v_fma_f16 v9, v146, v3, -v9
	v_mul_f16_e32 v3, v15, v3
	s_waitcnt vmcnt(21)
	v_lshrrev_b32_e32 v15, 16, v141
	s_waitcnt vmcnt(20)
	v_lshrrev_b32_e32 v2, 16, v11
	v_fmac_f16_e64 v3, v146, v10
	s_waitcnt vmcnt(17)
	v_lshrrev_b32_e32 v17, 16, v19
	scratch_store_b32 off, v19, off offset:136 ; 4-byte Folded Spill
	s_waitcnt vmcnt(14)
	v_lshrrev_b32_e32 v21, 16, v144
	v_lshrrev_b32_e32 v16, 16, v126
	v_pack_b32_f16 v9, v3, v9
	scratch_store_b32 off, v17, off offset:140 ; 4-byte Folded Spill
	v_mul_f16_e32 v3, v15, v11
	v_mul_f16_e32 v15, v15, v2
	v_lshrrev_b32_e32 v32, 16, v139
	s_delay_alu instid0(VALU_DEP_3) | instskip(SKIP_3) | instid1(VALU_DEP_3)
	v_fma_f16 v10, v141, v2, -v3
	v_lshrrev_b32_e32 v2, 16, v13
	v_mul_f16_e32 v3, v16, v13
	v_fmac_f16_e64 v15, v141, v11
	v_mul_f16_e32 v16, v16, v2
	s_delay_alu instid0(VALU_DEP_3) | instskip(SKIP_4) | instid1(VALU_DEP_4)
	v_fma_f16 v11, v126, v2, -v3
	v_lshrrev_b32_e32 v2, 16, v14
	v_mul_f16_e32 v3, v17, v14
	v_pack_b32_f16 v10, v15, v10
	v_fmac_f16_e32 v16, v126, v13
	v_mul_f16_e32 v17, v17, v2
	s_delay_alu instid0(VALU_DEP_4)
	v_fma_f16 v13, v19, v2, -v3
	v_add_co_u32 v2, vcc_lo, 0x4000, v90
	v_add_co_ci_u32_e32 v3, vcc_lo, 0, v91, vcc_lo
	s_clause 0x3
	global_load_b32 v137, v[2:3], off offset:2432
	global_load_b32 v35, v[2:3], off offset:3216
	;; [unrolled: 1-line block ×4, first 2 shown]
	v_fmac_f16_e32 v17, v19, v14
	s_waitcnt vmcnt(8)
	v_lshrrev_b32_e32 v14, 16, v6
	v_pack_b32_f16 v11, v16, v11
	s_delay_alu instid0(VALU_DEP_3) | instskip(SKIP_2) | instid1(VALU_DEP_1)
	v_pack_b32_f16 v13, v17, v13
	s_waitcnt vmcnt(3)
	v_lshrrev_b32_e32 v20, 16, v137
	v_mul_f16_e32 v19, v20, v6
	s_delay_alu instid0(VALU_DEP_1) | instskip(SKIP_2) | instid1(VALU_DEP_2)
	v_fma_f16 v19, v137, v14, -v19
	v_mul_f16_e32 v14, v20, v14
	v_mul_f16_e32 v20, v21, v18
	v_fmac_f16_e64 v14, v137, v6
	v_lshrrev_b32_e32 v6, 16, v18
	s_delay_alu instid0(VALU_DEP_2) | instskip(NEXT) | instid1(VALU_DEP_2)
	v_pack_b32_f16 v14, v14, v19
	v_fma_f16 v20, v144, v6, -v20
	v_mul_f16_e32 v6, v21, v6
	s_delay_alu instid0(VALU_DEP_1) | instskip(NEXT) | instid1(VALU_DEP_1)
	v_fmac_f16_e64 v6, v144, v18
	v_pack_b32_f16 v6, v6, v20
	ds_store_b32 v155, v7 offset:3136
	ds_store_b32 v155, v9 offset:6272
	;; [unrolled: 1-line block ×6, first 2 shown]
	ds_store_2addr_b32 v155, v8, v6 offset1:196
	global_load_b32 v21, v[0:1], off offset:608
	v_add_co_u32 v0, vcc_lo, v4, s2
	v_add_co_ci_u32_e32 v1, vcc_lo, s3, v5, vcc_lo
	global_load_b32 v19, v[4:5], off
	v_add_co_u32 v4, vcc_lo, v0, s2
	v_add_co_ci_u32_e32 v5, vcc_lo, s3, v1, vcc_lo
	s_delay_alu instid0(VALU_DEP_2) | instskip(NEXT) | instid1(VALU_DEP_2)
	v_add_co_u32 v6, vcc_lo, v4, s2
	v_add_co_ci_u32_e32 v7, vcc_lo, s3, v5, vcc_lo
	s_delay_alu instid0(VALU_DEP_2) | instskip(NEXT) | instid1(VALU_DEP_2)
	v_add_co_u32 v8, vcc_lo, v6, s2
	v_add_co_ci_u32_e32 v9, vcc_lo, s3, v7, vcc_lo
	global_load_b32 v6, v[6:7], off
	v_add_co_u32 v10, vcc_lo, v8, s2
	v_add_co_ci_u32_e32 v11, vcc_lo, s3, v9, vcc_lo
	s_delay_alu instid0(VALU_DEP_2) | instskip(NEXT) | instid1(VALU_DEP_2)
	v_add_co_u32 v13, vcc_lo, v10, s8
	v_add_co_ci_u32_e32 v14, vcc_lo, s4, v11, vcc_lo
	s_delay_alu instid0(VALU_DEP_2) | instskip(NEXT) | instid1(VALU_DEP_2)
	v_add_co_u32 v15, vcc_lo, v13, s2
	v_add_co_ci_u32_e32 v16, vcc_lo, s3, v14, vcc_lo
	s_delay_alu instid0(VALU_DEP_2)
	v_add_co_u32 v17, vcc_lo, v15, s2
	global_load_b32 v15, v[15:16], off
	v_add_co_ci_u32_e32 v18, vcc_lo, s3, v16, vcc_lo
	s_waitcnt vmcnt(2)
	v_lshrrev_b32_e32 v16, 16, v19
	v_mul_f16_e32 v20, v32, v19
	s_delay_alu instid0(VALU_DEP_1) | instskip(SKIP_2) | instid1(VALU_DEP_2)
	v_fma_f16 v20, v139, v16, -v20
	v_mul_f16_e32 v16, v32, v16
	v_mov_b32_e32 v32, v21
	v_fmac_f16_e64 v16, v139, v19
	s_delay_alu instid0(VALU_DEP_2) | instskip(SKIP_4) | instid1(VALU_DEP_1)
	v_lshrrev_b32_e32 v33, 16, v32
	scratch_store_b32 off, v33, off offset:100 ; 4-byte Folded Spill
	s_waitcnt vmcnt(0)
	v_lshrrev_b32_e32 v19, 16, v15
	v_mul_f16_e32 v21, v33, v15
	v_fma_f16 v21, v32, v19, -v21
	v_mul_f16_e32 v19, v33, v19
	s_delay_alu instid0(VALU_DEP_1) | instskip(SKIP_2) | instid1(VALU_DEP_3)
	v_fmac_f16_e32 v19, v32, v15
	v_pack_b32_f16 v15, v16, v20
	v_lshrrev_b32_e32 v20, 16, v31
	v_pack_b32_f16 v16, v19, v21
	v_add_nc_u32_e32 v19, 0xf00, v155
	scratch_store_b32 off, v20, off offset:92 ; 4-byte Folded Spill
	ds_store_2addr_b32 v19, v15, v16 offset0:20 offset1:216
	global_load_b32 v15, v[0:1], off
	global_load_b32 v16, v[17:18], off
	v_lshrrev_b32_e32 v19, 16, v140
	v_add_co_u32 v0, vcc_lo, v17, s2
	v_add_co_ci_u32_e32 v1, vcc_lo, s3, v18, vcc_lo
	s_waitcnt vmcnt(1)
	v_lshrrev_b32_e32 v17, 16, v15
	v_mul_f16_e32 v18, v19, v15
	s_delay_alu instid0(VALU_DEP_1) | instskip(SKIP_3) | instid1(VALU_DEP_2)
	v_fma_f16 v18, v140, v17, -v18
	v_mul_f16_e32 v17, v19, v17
	s_waitcnt vmcnt(0)
	v_mul_f16_e32 v19, v20, v16
	v_fmac_f16_e64 v17, v140, v15
	v_lshrrev_b32_e32 v15, 16, v16
	s_delay_alu instid0(VALU_DEP_1) | instskip(SKIP_1) | instid1(VALU_DEP_1)
	v_fma_f16 v19, v31, v15, -v19
	v_mul_f16_e32 v15, v20, v15
	v_fmac_f16_e32 v15, v31, v16
	v_pack_b32_f16 v16, v17, v18
	v_add_nc_u32_e32 v17, 0x1b00, v155
	v_lshrrev_b32_e32 v18, 16, v28
	s_delay_alu instid0(VALU_DEP_4)
	v_pack_b32_f16 v15, v15, v19
	scratch_store_b32 off, v18, off offset:84 ; 4-byte Folded Spill
	ds_store_2addr_b32 v17, v16, v15 offset0:36 offset1:232
	global_load_b32 v15, v[4:5], off
	v_add_co_u32 v4, vcc_lo, v0, s2
	global_load_b32 v0, v[0:1], off
	v_lshrrev_b32_e32 v17, 16, v195
	v_add_co_ci_u32_e32 v5, vcc_lo, s3, v1, vcc_lo
	s_waitcnt vmcnt(1)
	v_lshrrev_b32_e32 v1, 16, v15
	s_delay_alu instid0(VALU_DEP_3) | instskip(NEXT) | instid1(VALU_DEP_1)
	v_mul_f16_e32 v16, v17, v15
	v_fma_f16 v16, v195, v1, -v16
	v_mul_f16_e32 v1, v17, v1
	s_waitcnt vmcnt(0)
	v_mul_f16_e32 v17, v18, v0
	s_delay_alu instid0(VALU_DEP_2) | instskip(SKIP_1) | instid1(VALU_DEP_1)
	v_fmac_f16_e64 v1, v195, v15
	v_lshrrev_b32_e32 v15, 16, v0
	v_fma_f16 v17, v28, v15, -v17
	v_mul_f16_e32 v15, v18, v15
	s_delay_alu instid0(VALU_DEP_1)
	v_fmac_f16_e32 v15, v28, v0
	v_pack_b32_f16 v0, v1, v16
	v_lshrrev_b32_e32 v16, 16, v27
	s_clause 0x1
	scratch_store_b32 off, v27, off offset:72
	scratch_store_b32 off, v28, off offset:80
	v_pack_b32_f16 v1, v15, v17
	v_add_nc_u32_e32 v15, 0x2700, v155
	s_clause 0x2
	scratch_store_b32 off, v31, off offset:88
	scratch_store_b32 off, v32, off offset:96
	;; [unrolled: 1-line block ×3, first 2 shown]
	ds_store_2addr_b32 v15, v0, v1 offset0:52 offset1:248
	v_add_co_u32 v0, vcc_lo, v4, s2
	global_load_b32 v4, v[4:5], off
	v_lshrrev_b32_e32 v15, 16, v36
	v_add_co_ci_u32_e32 v1, vcc_lo, s3, v5, vcc_lo
	v_lshrrev_b32_e32 v5, 16, v6
	s_clause 0x1
	scratch_store_b32 off, v36, off offset:128
	scratch_store_b32 off, v15, off offset:132
	v_mul_f16_e32 v7, v15, v6
	s_delay_alu instid0(VALU_DEP_1) | instskip(SKIP_1) | instid1(VALU_DEP_1)
	v_fma_f16 v7, v36, v5, -v7
	v_mul_f16_e32 v5, v15, v5
	v_fmac_f16_e32 v5, v36, v6
	s_waitcnt vmcnt(0)
	v_lshrrev_b32_e32 v6, 16, v4
	v_mul_f16_e32 v15, v16, v4
	s_delay_alu instid0(VALU_DEP_1) | instskip(SKIP_1) | instid1(VALU_DEP_1)
	v_fma_f16 v15, v27, v6, -v15
	v_mul_f16_e32 v6, v16, v6
	v_fmac_f16_e32 v6, v27, v4
	v_pack_b32_f16 v4, v5, v7
	s_delay_alu instid0(VALU_DEP_2)
	v_pack_b32_f16 v5, v6, v15
	v_add_nc_u32_e32 v6, 0x3400, v155
	ds_store_2addr_b32 v6, v4, v5 offset0:4 offset1:200
	global_load_b32 v4, v[8:9], off
	s_clause 0x1
	global_load_b32 v6, v[2:3], off offset:80
	global_load_b32 v7, v[2:3], off offset:864
	v_add_co_u32 v2, vcc_lo, v0, s2
	global_load_b32 v0, v[0:1], off
	v_add_co_ci_u32_e32 v3, vcc_lo, s3, v1, vcc_lo
	v_lshrrev_b32_e32 v9, 16, v26
	s_clause 0x2
	scratch_store_b32 off, v35, off offset:112
	scratch_store_b32 off, v29, off offset:56
	;; [unrolled: 1-line block ×3, first 2 shown]
	s_waitcnt vmcnt(3)
	v_lshrrev_b32_e32 v1, 16, v4
	s_waitcnt vmcnt(2)
	v_lshrrev_b32_e32 v8, 16, v6
	s_waitcnt vmcnt(1)
	s_clause 0x2
	scratch_store_b32 off, v7, off offset:64
	scratch_store_b32 off, v6, off offset:120
	;; [unrolled: 1-line block ×3, first 2 shown]
	v_mul_f16_e32 v5, v8, v4
	s_delay_alu instid0(VALU_DEP_1) | instskip(SKIP_2) | instid1(VALU_DEP_2)
	v_fma_f16 v5, v6, v1, -v5
	v_mul_f16_e32 v1, v8, v1
	v_lshrrev_b32_e32 v8, 16, v7
	v_fmac_f16_e32 v1, v6, v4
	s_waitcnt vmcnt(0)
	v_lshrrev_b32_e32 v4, 16, v0
	s_delay_alu instid0(VALU_DEP_3) | instskip(NEXT) | instid1(VALU_DEP_1)
	v_mul_f16_e32 v6, v8, v0
	v_fma_f16 v6, v7, v4, -v6
	v_mul_f16_e32 v4, v8, v4
	s_delay_alu instid0(VALU_DEP_1) | instskip(SKIP_2) | instid1(VALU_DEP_3)
	v_fmac_f16_e32 v4, v7, v0
	v_pack_b32_f16 v0, v1, v5
	v_lshrrev_b32_e32 v7, 16, v30
	v_pack_b32_f16 v1, v4, v6
	v_add_nc_u32_e32 v4, 0x4000, v155
	v_lshrrev_b32_e32 v6, 16, v35
	s_clause 0x1
	scratch_store_b32 off, v8, off offset:68
	scratch_store_b32 off, v7, off offset:52
	ds_store_2addr_b32 v4, v0, v1 offset0:20 offset1:216
	scratch_store_b32 off, v6, off offset:116 ; 4-byte Folded Spill
	global_load_b32 v4, v[10:11], off
	v_add_co_u32 v0, vcc_lo, v2, s8
	global_load_b32 v2, v[2:3], off
	v_add_co_ci_u32_e32 v1, vcc_lo, s4, v3, vcc_lo
	v_lshrrev_b32_e32 v10, 16, v23
	v_lshrrev_b32_e32 v11, 16, v22
	s_clause 0x1
	scratch_store_b32 off, v10, off offset:20
	scratch_store_b32 off, v11, off offset:12
	s_waitcnt vmcnt(1)
	v_lshrrev_b32_e32 v3, 16, v4
	v_mul_f16_e32 v5, v6, v4
	s_delay_alu instid0(VALU_DEP_1) | instskip(SKIP_3) | instid1(VALU_DEP_2)
	v_fma_f16 v5, v35, v3, -v5
	v_mul_f16_e32 v3, v6, v3
	s_waitcnt vmcnt(0)
	v_mul_f16_e32 v6, v7, v2
	v_fmac_f16_e32 v3, v35, v4
	v_lshrrev_b32_e32 v4, 16, v2
	s_delay_alu instid0(VALU_DEP_1) | instskip(SKIP_2) | instid1(VALU_DEP_2)
	v_fma_f16 v6, v30, v4, -v6
	v_mul_f16_e32 v4, v7, v4
	v_lshrrev_b32_e32 v7, 16, v29
	v_fmac_f16_e32 v4, v30, v2
	v_pack_b32_f16 v2, v3, v5
	scratch_store_b32 off, v7, off offset:60 ; 4-byte Folded Spill
	v_pack_b32_f16 v3, v4, v6
	v_add_nc_u32_e32 v4, 0x4c00, v155
	v_lshrrev_b32_e32 v6, 16, v34
	ds_store_2addr_b32 v4, v2, v3 offset0:36 offset1:232
	global_load_b32 v4, v[13:14], off
	v_add_co_u32 v2, vcc_lo, v0, s2
	global_load_b32 v0, v[0:1], off
	v_add_co_ci_u32_e32 v3, vcc_lo, s3, v1, vcc_lo
	scratch_store_b32 off, v6, off offset:108 ; 4-byte Folded Spill
	s_waitcnt vmcnt(1)
	v_lshrrev_b32_e32 v1, 16, v4
	v_mul_f16_e32 v5, v6, v4
	s_delay_alu instid0(VALU_DEP_1) | instskip(SKIP_3) | instid1(VALU_DEP_2)
	v_fma_f16 v5, v34, v1, -v5
	v_mul_f16_e32 v1, v6, v1
	s_waitcnt vmcnt(0)
	v_mul_f16_e32 v6, v7, v0
	v_fmac_f16_e32 v1, v34, v4
	v_lshrrev_b32_e32 v4, 16, v0
	s_delay_alu instid0(VALU_DEP_1) | instskip(SKIP_1) | instid1(VALU_DEP_1)
	v_fma_f16 v6, v29, v4, -v6
	v_mul_f16_e32 v4, v7, v4
	v_fmac_f16_e32 v4, v29, v0
	v_pack_b32_f16 v0, v1, v5
	s_delay_alu instid0(VALU_DEP_2) | instskip(SKIP_4) | instid1(VALU_DEP_2)
	v_pack_b32_f16 v1, v4, v6
	global_load_b32 v4, v[2:3], off
	ds_store_2addr_b32 v124, v0, v1 offset0:8 offset1:204
	v_add_co_u32 v0, vcc_lo, v2, s2
	v_add_co_ci_u32_e32 v1, vcc_lo, s3, v3, vcc_lo
	v_add_co_u32 v2, vcc_lo, v0, s2
	s_delay_alu instid0(VALU_DEP_2)
	v_add_co_ci_u32_e32 v3, vcc_lo, s3, v1, vcc_lo
	global_load_b32 v5, v[0:1], off
	v_add_co_u32 v0, vcc_lo, v2, s2
	v_add_co_ci_u32_e32 v1, vcc_lo, s3, v3, vcc_lo
	global_load_b32 v6, v[2:3], off
	v_add_co_u32 v2, vcc_lo, v0, s2
	;; [unrolled: 3-line block ×3, first 2 shown]
	v_add_co_ci_u32_e32 v1, vcc_lo, s3, v3, vcc_lo
	v_add_co_u32 v74, vcc_lo, 0x5000, v90
	v_add_co_ci_u32_e32 v75, vcc_lo, 0, v91, vcc_lo
	global_load_b32 v2, v[2:3], off
	global_load_b32 v0, v[0:1], off
	global_load_b32 v13, v[74:75], off offset:688
	s_waitcnt vmcnt(6)
	v_lshrrev_b32_e32 v3, 16, v4
	v_mul_f16_e32 v8, v9, v4
	s_delay_alu instid0(VALU_DEP_1) | instskip(SKIP_2) | instid1(VALU_DEP_2)
	v_fma_f16 v8, v26, v3, -v8
	v_mul_f16_e32 v3, v9, v3
	v_lshrrev_b32_e32 v9, 16, v24
	v_fmac_f16_e32 v3, v26, v4
	scratch_store_b32 off, v9, off offset:28 ; 4-byte Folded Spill
	v_pack_b32_f16 v1, v3, v8
	v_lshrrev_b32_e32 v8, 16, v25
	s_waitcnt vmcnt(5)
	v_lshrrev_b32_e32 v3, 16, v5
	s_clause 0x2
	scratch_store_b32 off, v25, off offset:32
	scratch_store_b32 off, v26, off offset:40
	;; [unrolled: 1-line block ×3, first 2 shown]
	v_mul_f16_e32 v4, v8, v5
	s_clause 0x1
	scratch_store_b32 off, v8, off offset:36
	scratch_store_b32 off, v34, off offset:104
	v_fma_f16 v4, v25, v3, -v4
	v_mul_f16_e32 v3, v8, v3
	s_waitcnt vmcnt(4)
	v_mul_f16_e32 v8, v9, v6
	s_delay_alu instid0(VALU_DEP_2)
	v_fmac_f16_e32 v3, v25, v5
	v_lshrrev_b32_e32 v5, 16, v6
	s_waitcnt vmcnt(0)
	v_lshrrev_b32_e32 v14, 16, v13
	s_clause 0x2
	scratch_store_b32 off, v13, off
	scratch_store_b32 off, v22, off offset:8
	scratch_store_b32 off, v23, off offset:16
	v_fma_f16 v8, v24, v5, -v8
	v_mul_f16_e32 v5, v9, v5
	scratch_store_b32 off, v24, off offset:24 ; 4-byte Folded Spill
	v_mul_f16_e32 v9, v10, v7
	scratch_store_b32 off, v14, off offset:4 ; 4-byte Folded Spill
	v_fmac_f16_e32 v5, v24, v6
	v_lshrrev_b32_e32 v6, 16, v7
	s_delay_alu instid0(VALU_DEP_1) | instskip(SKIP_2) | instid1(VALU_DEP_2)
	v_fma_f16 v9, v23, v6, -v9
	v_mul_f16_e32 v6, v10, v6
	v_mul_f16_e32 v10, v11, v2
	v_fmac_f16_e32 v6, v23, v7
	v_lshrrev_b32_e32 v7, 16, v2
	s_delay_alu instid0(VALU_DEP_1) | instskip(SKIP_2) | instid1(VALU_DEP_2)
	v_fma_f16 v10, v22, v7, -v10
	v_mul_f16_e32 v7, v11, v7
	v_mul_f16_e32 v11, v14, v0
	v_fmac_f16_e32 v7, v22, v2
	v_lshrrev_b32_e32 v2, 16, v0
	s_delay_alu instid0(VALU_DEP_1) | instskip(SKIP_1) | instid1(VALU_DEP_1)
	v_fma_f16 v11, v13, v2, -v11
	v_mul_f16_e32 v2, v14, v2
	v_fmac_f16_e32 v2, v13, v0
	v_pack_b32_f16 v0, v3, v4
	v_pack_b32_f16 v3, v5, v8
	;; [unrolled: 1-line block ×5, first 2 shown]
	ds_store_b32 v155, v1 offset:5488
	ds_store_b32 v155, v0 offset:8624
	;; [unrolled: 1-line block ×6, first 2 shown]
	s_load_b128 s[8:11], s[10:11], 0x0
	s_waitcnt lgkmcnt(0)
	s_waitcnt_vscnt null, 0x0
	s_barrier
	buffer_gl0_inv
	ds_load_2addr_b32 v[0:1], v161 offset0:16 offset1:212
	ds_load_2addr_b32 v[2:3], v151 offset0:32 offset1:228
	;; [unrolled: 1-line block ×3, first 2 shown]
	ds_load_2addr_b32 v[10:11], v159 offset1:196
	s_waitcnt lgkmcnt(3)
	v_lshrrev_b32_e32 v4, 16, v0
	s_waitcnt lgkmcnt(2)
	v_lshrrev_b32_e32 v5, 16, v2
	;; [unrolled: 2-line block ×4, first 2 shown]
	v_add_f16_e32 v14, v4, v5
	v_sub_f16_e32 v13, v4, v5
	ds_load_2addr_b32 v[4:5], v162 offset0:32 offset1:228
	s_waitcnt lgkmcnt(0)
	v_lshrrev_b32_e32 v8, 16, v4
	v_add_f16_e32 v20, v4, v6
	v_sub_f16_e32 v4, v4, v6
	s_delay_alu instid0(VALU_DEP_3)
	v_add_f16_e32 v16, v8, v9
	v_sub_f16_e32 v15, v8, v9
	ds_load_2addr_b32 v[8:9], v160 offset0:48 offset1:244
	s_waitcnt lgkmcnt(0)
	v_lshrrev_b32_e32 v17, 16, v8
	v_sub_f16_e32 v6, v10, v8
	v_add_f16_e32 v21, v8, v10
	s_delay_alu instid0(VALU_DEP_3)
	v_add_f16_e32 v18, v17, v19
	v_sub_f16_e32 v17, v19, v17
	v_add_f16_e32 v19, v0, v2
	v_sub_f16_e32 v0, v0, v2
	;; [unrolled: 2-line block ×3, first 2 shown]
	v_sub_f16_e32 v10, v14, v18
	v_add_f16_e32 v22, v20, v19
	v_sub_f16_e32 v6, v0, v6
	v_sub_f16_e32 v4, v4, v0
	v_add_f16_e32 v0, v2, v0
	v_add_f16_e32 v2, v16, v14
	v_sub_f16_e32 v23, v19, v21
	v_sub_f16_e32 v19, v20, v19
	;; [unrolled: 1-line block ×5, first 2 shown]
	v_add_f16_e32 v2, v18, v2
	v_add_f16_e32 v18, v17, v15
	v_add_f16_e32 v21, v21, v22
	v_sub_f16_e32 v22, v17, v15
	v_sub_f16_e32 v17, v13, v17
	;; [unrolled: 1-line block ×3, first 2 shown]
	v_add_f16_e32 v18, v18, v13
	v_mul_f16_e32 v13, 0x3a52, v23
	v_mul_f16_e32 v23, 0x2b26, v20
	;; [unrolled: 1-line block ×5, first 2 shown]
	v_fmamk_f16 v20, v20, 0x2b26, v13
	v_fma_f16 v23, v19, 0x39e0, -v23
	v_fma_f16 v19, v19, 0xb9e0, -v13
	v_fma_f16 v4, v4, 0x3b00, -v8
	v_fmamk_f16 v8, v6, 0x3574, v8
	v_fmac_f16_e32 v29, 0xb574, v6
	v_mul_f16_e32 v6, 0x3a52, v10
	v_mul_f16_e32 v10, 0x2b26, v16
	;; [unrolled: 1-line block ×3, first 2 shown]
	v_fmac_f16_e32 v8, 0x370e, v0
	v_fmac_f16_e32 v4, 0x370e, v0
	v_fmamk_f16 v16, v16, 0x2b26, v6
	v_fma_f16 v10, v14, 0x39e0, -v10
	v_fma_f16 v6, v14, 0xb9e0, -v6
	;; [unrolled: 1-line block ×3, first 2 shown]
	v_fmamk_f16 v32, v17, 0x3574, v13
	ds_load_2addr_b32 v[13:14], v155 offset1:196
	v_fmac_f16_e32 v29, 0x370e, v0
	v_fmac_f16_e32 v30, 0xb574, v17
	;; [unrolled: 1-line block ×4, first 2 shown]
	s_delay_alu instid0(VALU_DEP_3) | instskip(SKIP_3) | instid1(VALU_DEP_2)
	v_fmac_f16_e32 v30, 0x370e, v18
	s_waitcnt lgkmcnt(0)
	v_lshrrev_b32_e32 v0, 16, v13
	v_add_f16_e32 v13, v13, v21
	v_add_f16_e32 v0, v0, v2
	s_delay_alu instid0(VALU_DEP_2) | instskip(NEXT) | instid1(VALU_DEP_2)
	v_fmamk_f16 v15, v21, 0xbcab, v13
	v_fmamk_f16 v2, v2, 0xbcab, v0
	v_pack_b32_f16 v0, v13, v0
	s_delay_alu instid0(VALU_DEP_3)
	v_add_f16_e32 v13, v20, v15
	v_add_f16_e32 v33, v23, v15
	v_add_f16_e32 v34, v19, v15
	v_add_f16_e32 v35, v16, v2
	v_add_f16_e32 v10, v10, v2
	v_add_f16_e32 v2, v6, v2
	v_add_f16_e32 v6, v13, v32
	s_delay_alu instid0(VALU_DEP_4) | instskip(NEXT) | instid1(VALU_DEP_4)
	v_sub_f16_e32 v15, v35, v8
	v_add_f16_e32 v16, v4, v10
	v_sub_f16_e32 v4, v10, v4
	v_lshrrev_b32_e32 v10, 16, v9
	s_delay_alu instid0(VALU_DEP_4) | instskip(SKIP_1) | instid1(VALU_DEP_1)
	v_pack_b32_f16 v6, v6, v15
	v_sub_f16_e32 v15, v33, v31
	v_pack_b32_f16 v36, v15, v16
	v_add_f16_e32 v15, v30, v34
	v_sub_f16_e32 v16, v2, v29
	v_add_f16_e32 v2, v29, v2
	s_delay_alu instid0(VALU_DEP_2) | instskip(SKIP_1) | instid1(VALU_DEP_1)
	v_pack_b32_f16 v37, v15, v16
	v_mul_lo_u16 v15, v12, 7
	v_and_b32_e32 v15, 0xffff, v15
	s_delay_alu instid0(VALU_DEP_1)
	v_lshlrev_b32_e32 v172, 2, v15
	ds_load_2addr_b32 v[15:16], v124 offset0:8 offset1:204
	ds_load_2addr_b32 v[17:18], v128 offset0:24 offset1:220
	;; [unrolled: 1-line block ×7, first 2 shown]
	s_waitcnt lgkmcnt(0)
	s_barrier
	buffer_gl0_inv
	ds_store_2addr_b32 v172, v0, v6 offset1:1
	v_add_f16_e32 v0, v31, v33
	v_sub_f16_e32 v6, v34, v30
	v_lshrrev_b32_e32 v30, 16, v14
	s_delay_alu instid0(VALU_DEP_3) | instskip(NEXT) | instid1(VALU_DEP_3)
	v_pack_b32_f16 v0, v0, v4
	v_pack_b32_f16 v2, v6, v2
	ds_store_2addr_b32 v172, v37, v36 offset0:2 offset1:3
	v_sub_f16_e32 v4, v13, v32
	v_add_f16_e32 v6, v8, v35
	v_add_f16_e32 v8, v5, v7
	;; [unrolled: 1-line block ×3, first 2 shown]
	v_sub_f16_e32 v9, v11, v9
	v_lshrrev_b32_e32 v11, 16, v11
	v_pack_b32_f16 v4, v4, v6
	ds_store_2addr_b32 v172, v0, v2 offset0:4 offset1:5
	v_lshrrev_b32_e32 v0, 16, v1
	v_add_f16_e32 v2, v1, v3
	v_sub_f16_e32 v1, v1, v3
	ds_store_b32 v172, v4 offset:24
	v_lshrrev_b32_e32 v3, 16, v3
	v_lshrrev_b32_e32 v6, 16, v5
	v_sub_f16_e32 v5, v5, v7
	v_lshrrev_b32_e32 v7, 16, v7
	v_sub_f16_e32 v4, v2, v13
	v_add_f16_e32 v29, v0, v3
	v_sub_f16_e32 v0, v0, v3
	v_add_f16_e32 v31, v9, v5
	v_add_f16_e32 v3, v6, v7
	v_sub_f16_e32 v6, v6, v7
	v_add_f16_e32 v7, v10, v11
	v_sub_f16_e32 v10, v11, v10
	v_add_f16_e32 v11, v8, v2
	v_add_f16_e32 v33, v3, v29
	v_sub_f16_e32 v32, v9, v5
	v_sub_f16_e32 v9, v1, v9
	;; [unrolled: 1-line block ×3, first 2 shown]
	v_add_f16_e32 v11, v13, v11
	v_sub_f16_e32 v13, v13, v8
	v_add_f16_e32 v33, v7, v33
	v_sub_f16_e32 v7, v7, v3
	;; [unrolled: 2-line block ×3, first 2 shown]
	v_add_f16_e32 v31, v31, v1
	v_mul_f16_e32 v4, 0x3a52, v4
	v_sub_f16_e32 v2, v8, v2
	v_sub_f16_e32 v1, v5, v1
	v_mul_f16_e32 v5, 0x2b26, v13
	v_add_f16_e32 v14, v14, v11
	v_sub_f16_e32 v10, v0, v10
	v_mul_f16_e32 v32, 0xb846, v32
	v_add_f16_e32 v30, v30, v33
	v_add_f16_e32 v35, v35, v0
	v_mul_f16_e32 v34, 0x3a52, v34
	v_mul_f16_e32 v36, 0xb846, v36
	v_fmamk_f16 v37, v13, 0x2b26, v4
	v_sub_f16_e32 v3, v3, v29
	v_sub_f16_e32 v0, v6, v0
	v_fma_f16 v5, v2, 0x39e0, -v5
	v_fma_f16 v2, v2, 0xb9e0, -v4
	v_mul_f16_e32 v4, 0x2b26, v7
	v_fmamk_f16 v11, v11, 0xbcab, v14
	v_fmamk_f16 v33, v33, 0xbcab, v30
	;; [unrolled: 1-line block ×3, first 2 shown]
	v_fma_f16 v6, v1, 0x3b00, -v32
	v_fma_f16 v4, v3, 0x39e0, -v4
	v_mul_f16_e32 v1, 0xbb00, v1
	v_fma_f16 v7, v0, 0x3b00, -v36
	v_mul_f16_e32 v0, 0xbb00, v0
	v_fma_f16 v3, v3, 0xb9e0, -v34
	v_add_f16_e32 v5, v5, v11
	v_fmac_f16_e32 v1, 0xb574, v9
	v_add_f16_e32 v8, v4, v33
	v_fmac_f16_e32 v0, 0xb574, v10
	v_fmac_f16_e32 v7, 0x370e, v35
	;; [unrolled: 1-line block ×3, first 2 shown]
	v_fmamk_f16 v40, v9, 0x3574, v32
	v_add_f16_e32 v2, v2, v11
	v_add_f16_e32 v3, v3, v33
	v_fmac_f16_e32 v0, 0x370e, v35
	v_fmac_f16_e32 v1, 0x370e, v31
	v_sub_f16_e32 v4, v5, v7
	v_add_f16_e32 v9, v6, v8
	v_fmamk_f16 v39, v10, 0x3574, v36
	v_add_f16_e32 v37, v37, v11
	v_sub_f16_e32 v10, v3, v1
	v_add_f16_e32 v38, v38, v33
	v_pack_b32_f16 v9, v4, v9
	v_add_f16_e32 v4, v0, v2
	v_fmac_f16_e32 v39, 0x370e, v35
	v_fmac_f16_e32 v40, 0x370e, v31
	v_add_f16_e32 v5, v7, v5
	v_sub_f16_e32 v0, v2, v0
	v_pack_b32_f16 v10, v4, v10
	v_add_co_u32 v4, null, 0xc4, v145
	v_add_f16_e32 v41, v37, v39
	v_sub_f16_e32 v42, v38, v40
	v_add_f16_e32 v1, v1, v3
	s_delay_alu instid0(VALU_DEP_4)
	v_mul_u32_u24_e32 v11, 7, v4
	v_sub_f16_e32 v2, v8, v6
	v_pack_b32_f16 v14, v14, v30
	v_pack_b32_f16 v41, v41, v42
	;; [unrolled: 1-line block ×3, first 2 shown]
	v_lshlrev_b32_e32 v171, 2, v11
	v_pack_b32_f16 v1, v5, v2
	v_sub_f16_e32 v2, v37, v39
	v_add_f16_e32 v3, v40, v38
	v_lshrrev_b32_e32 v5, 16, v25
	ds_store_2addr_b32 v171, v14, v41 offset1:1
	ds_store_2addr_b32 v171, v10, v9 offset0:2 offset1:3
	v_lshrrev_b32_e32 v7, 16, v23
	v_pack_b32_f16 v2, v2, v3
	ds_store_2addr_b32 v171, v1, v0 offset0:4 offset1:5
	v_lshrrev_b32_e32 v0, 16, v17
	v_lshrrev_b32_e32 v1, 16, v27
	v_add_f16_e32 v9, v21, v23
	ds_store_b32 v171, v2 offset:24
	v_add_f16_e32 v2, v17, v27
	v_sub_f16_e32 v17, v17, v27
	v_add_f16_e32 v3, v0, v1
	v_sub_f16_e32 v0, v0, v1
	v_lshrrev_b32_e32 v1, 16, v19
	v_sub_f16_e32 v11, v2, v9
	v_lshrrev_b32_e32 v30, 16, v15
	s_delay_alu instid0(VALU_DEP_3)
	v_add_f16_e32 v6, v1, v5
	v_sub_f16_e32 v1, v1, v5
	v_lshrrev_b32_e32 v5, 16, v21
	v_sub_f16_e32 v21, v23, v21
	v_mul_f16_e32 v11, 0x3a52, v11
	v_add_f16_e32 v13, v6, v3
	s_delay_alu instid0(VALU_DEP_4) | instskip(SKIP_3) | instid1(VALU_DEP_4)
	v_add_f16_e32 v8, v5, v7
	v_sub_f16_e32 v5, v7, v5
	v_add_f16_e32 v7, v19, v25
	v_sub_f16_e32 v19, v19, v25
	;; [unrolled: 2-line block ×3, first 2 shown]
	s_delay_alu instid0(VALU_DEP_4)
	v_add_f16_e32 v10, v7, v2
	v_sub_f16_e32 v8, v8, v6
	v_sub_f16_e32 v25, v21, v19
	v_add_f16_e32 v27, v5, v1
	v_sub_f16_e32 v29, v5, v1
	v_add_f16_e32 v10, v9, v10
	;; [unrolled: 2-line block ×4, first 2 shown]
	v_add_f16_e32 v30, v30, v13
	v_mul_f16_e32 v14, 0x3a52, v14
	v_mul_f16_e32 v25, 0xb846, v25
	;; [unrolled: 1-line block ×3, first 2 shown]
	v_add_f16_e32 v15, v15, v10
	v_sub_f16_e32 v2, v7, v2
	v_sub_f16_e32 v3, v6, v3
	;; [unrolled: 1-line block ×4, first 2 shown]
	v_mul_f16_e32 v1, 0x2b26, v9
	v_mul_f16_e32 v7, 0x2b26, v8
	v_sub_f16_e32 v21, v17, v21
	v_add_f16_e32 v23, v23, v17
	v_fmamk_f16 v10, v10, 0xbcab, v15
	v_fmamk_f16 v13, v13, 0xbcab, v30
	;; [unrolled: 1-line block ×4, first 2 shown]
	v_fma_f16 v1, v2, 0x39e0, -v1
	v_fma_f16 v7, v3, 0x39e0, -v7
	;; [unrolled: 1-line block ×3, first 2 shown]
	v_mul_f16_e32 v6, 0xbb00, v6
	v_fma_f16 v9, v0, 0x3b00, -v29
	v_mul_f16_e32 v0, 0xbb00, v0
	v_fmamk_f16 v33, v5, 0x3574, v29
	v_fma_f16 v2, v2, 0xb9e0, -v11
	v_fma_f16 v3, v3, 0xb9e0, -v14
	v_fmac_f16_e32 v6, 0xb574, v21
	v_fmac_f16_e32 v0, 0xb574, v5
	v_add_f16_e32 v1, v1, v10
	v_add_f16_e32 v5, v7, v13
	v_fmac_f16_e32 v9, 0x370e, v27
	v_fmac_f16_e32 v8, 0x370e, v23
	v_add_f16_e32 v31, v31, v10
	v_add_f16_e32 v2, v2, v10
	;; [unrolled: 1-line block ×3, first 2 shown]
	v_fmac_f16_e32 v0, 0x370e, v27
	v_fmac_f16_e32 v6, 0x370e, v23
	v_sub_f16_e32 v7, v1, v9
	v_add_f16_e32 v10, v8, v5
	v_fmamk_f16 v34, v21, 0x3574, v25
	v_add_f16_e32 v32, v32, v13
	v_sub_f16_e32 v11, v3, v6
	v_fmac_f16_e32 v33, 0x370e, v27
	v_pack_b32_f16 v7, v7, v10
	v_add_f16_e32 v10, v0, v2
	v_fmac_f16_e32 v34, 0x370e, v23
	v_add_f16_e32 v1, v9, v1
	v_add_f16_e32 v35, v31, v33
	v_sub_f16_e32 v0, v2, v0
	v_pack_b32_f16 v11, v10, v11
	v_add_co_u32 v10, null, 0x188, v145
	v_sub_f16_e32 v36, v32, v34
	v_add_f16_e32 v2, v6, v3
	v_sub_f16_e32 v3, v5, v8
	s_delay_alu instid0(VALU_DEP_4)
	v_mul_u32_u24_e32 v13, 7, v10
	v_pack_b32_f16 v15, v15, v30
	v_pack_b32_f16 v35, v35, v36
	;; [unrolled: 1-line block ×4, first 2 shown]
	v_lshlrev_b32_e32 v170, 2, v13
	v_sub_f16_e32 v2, v31, v33
	v_add_f16_e32 v3, v34, v32
	v_lshrrev_b32_e32 v5, 16, v28
	v_lshrrev_b32_e32 v6, 16, v20
	ds_store_2addr_b32 v170, v15, v35 offset1:1
	ds_store_2addr_b32 v170, v11, v7 offset0:2 offset1:3
	v_pack_b32_f16 v2, v2, v3
	ds_store_2addr_b32 v170, v1, v0 offset0:4 offset1:5
	v_lshrrev_b32_e32 v0, 16, v18
	v_add_f16_e32 v1, v18, v28
	v_add_f16_e32 v7, v20, v26
	ds_store_b32 v170, v2 offset:24
	v_lshrrev_b32_e32 v9, 16, v26
	v_lshrrev_b32_e32 v11, 16, v22
	;; [unrolled: 1-line block ×3, first 2 shown]
	v_add_f16_e32 v13, v22, v24
	v_add_f16_e32 v17, v0, v5
	v_sub_f16_e32 v0, v0, v5
	v_add_f16_e32 v5, v6, v9
	v_sub_f16_e32 v6, v6, v9
	v_add_f16_e32 v9, v11, v15
	v_sub_f16_e32 v11, v15, v11
	v_add_f16_e32 v15, v7, v1
	v_sub_f16_e32 v8, v20, v26
	v_sub_f16_e32 v14, v24, v22
	v_sub_f16_e32 v2, v1, v13
	v_add_f16_e32 v19, v5, v17
	v_add_f16_e32 v15, v13, v15
	v_sub_f16_e32 v13, v13, v7
	v_add_f16_e32 v23, v11, v6
	v_sub_f16_e32 v3, v18, v28
	v_lshrrev_b32_e32 v18, 16, v16
	v_add_f16_e32 v19, v9, v19
	v_sub_f16_e32 v20, v17, v9
	v_sub_f16_e32 v9, v9, v5
	v_add_f16_e32 v21, v14, v8
	v_sub_f16_e32 v22, v14, v8
	v_sub_f16_e32 v24, v11, v6
	;; [unrolled: 1-line block ×3, first 2 shown]
	v_add_f16_e32 v23, v23, v0
	v_mul_f16_e32 v2, 0x3a52, v2
	v_sub_f16_e32 v1, v7, v1
	v_sub_f16_e32 v0, v6, v0
	v_mul_f16_e32 v6, 0x2b26, v13
	v_add_f16_e32 v16, v16, v15
	v_sub_f16_e32 v14, v3, v14
	v_add_f16_e32 v21, v21, v3
	v_add_f16_e32 v18, v18, v19
	v_mul_f16_e32 v22, 0xb846, v22
	v_mul_f16_e32 v24, 0xb846, v24
	v_fmamk_f16 v25, v13, 0x2b26, v2
	v_sub_f16_e32 v5, v5, v17
	v_sub_f16_e32 v3, v8, v3
	v_fma_f16 v6, v1, 0x39e0, -v6
	v_fma_f16 v1, v1, 0xb9e0, -v2
	v_mul_f16_e32 v2, 0x2b26, v9
	v_mul_f16_e32 v20, 0x3a52, v20
	v_fmamk_f16 v15, v15, 0xbcab, v16
	v_fmamk_f16 v19, v19, 0xbcab, v18
	v_fma_f16 v7, v3, 0x3b00, -v22
	v_fma_f16 v2, v5, 0x39e0, -v2
	v_mul_f16_e32 v3, 0xbb00, v3
	v_fma_f16 v8, v0, 0x3b00, -v24
	v_mul_f16_e32 v0, 0xbb00, v0
	v_fma_f16 v5, v5, 0xb9e0, -v20
	v_add_f16_e32 v6, v6, v15
	v_fmac_f16_e32 v3, 0xb574, v14
	v_add_f16_e32 v2, v2, v19
	v_fmac_f16_e32 v0, 0xb574, v11
	v_fmac_f16_e32 v8, 0x370e, v23
	;; [unrolled: 1-line block ×3, first 2 shown]
	v_fmamk_f16 v26, v9, 0x2b26, v20
	v_fmamk_f16 v27, v11, 0x3574, v24
	v_add_f16_e32 v1, v1, v15
	v_add_f16_e32 v5, v5, v19
	v_fmac_f16_e32 v0, 0x370e, v23
	v_fmac_f16_e32 v3, 0x370e, v21
	v_sub_f16_e32 v9, v6, v8
	v_add_f16_e32 v11, v7, v2
	v_fmamk_f16 v28, v14, 0x3574, v22
	v_add_f16_e32 v25, v25, v15
	v_sub_f16_e32 v13, v5, v3
	v_add_f16_e32 v26, v26, v19
	v_pack_b32_f16 v9, v9, v11
	v_add_f16_e32 v11, v0, v1
	v_fmac_f16_e32 v27, 0x370e, v23
	v_fmac_f16_e32 v28, 0x370e, v21
	v_add_f16_e32 v6, v8, v6
	v_sub_f16_e32 v0, v1, v0
	v_pack_b32_f16 v13, v11, v13
	v_add_co_u32 v11, null, 0x24c, v145
	v_add_f16_e32 v29, v25, v27
	v_sub_f16_e32 v30, v26, v28
	v_add_f16_e32 v1, v3, v5
	s_delay_alu instid0(VALU_DEP_4)
	v_mul_u32_u24_e32 v14, 7, v11
	v_sub_f16_e32 v2, v2, v7
	v_pack_b32_f16 v16, v16, v18
	v_pack_b32_f16 v29, v29, v30
	;; [unrolled: 1-line block ×3, first 2 shown]
	v_lshlrev_b32_e32 v169, 2, v14
	v_pack_b32_f16 v1, v6, v2
	v_sub_f16_e32 v2, v25, v27
	v_add_f16_e32 v3, v28, v26
	v_and_b32_e32 v5, 0xff, v12
	ds_store_2addr_b32 v169, v16, v29 offset1:1
	ds_store_2addr_b32 v169, v13, v9 offset0:2 offset1:3
	v_add_nc_u16 v24, v12, 0x310
	v_pack_b32_f16 v2, v2, v3
	ds_store_2addr_b32 v169, v1, v0 offset0:4 offset1:5
	v_mul_lo_u16 v0, v5, 37
	v_add_nc_u16 v25, v12, 0x3d4
	v_add_nc_u16 v26, v12, 0x498
	ds_store_b32 v169, v2 offset:24
	s_waitcnt lgkmcnt(0)
	v_lshrrev_b16 v0, 8, v0
	s_barrier
	buffer_gl0_inv
	v_sub_nc_u16 v1, v12, v0
	s_delay_alu instid0(VALU_DEP_1) | instskip(NEXT) | instid1(VALU_DEP_1)
	v_lshrrev_b16 v1, 1, v1
	v_and_b32_e32 v1, 0x7f, v1
	s_delay_alu instid0(VALU_DEP_1) | instskip(SKIP_1) | instid1(VALU_DEP_2)
	v_add_nc_u16 v0, v1, v0
	v_and_b32_e32 v1, 0xffff, v4
	v_lshrrev_b16 v0, 2, v0
	s_delay_alu instid0(VALU_DEP_2) | instskip(NEXT) | instid1(VALU_DEP_1)
	v_mul_u32_u24_e32 v1, 0x2493, v1
	v_lshrrev_b32_e32 v1, 16, v1
	s_delay_alu instid0(VALU_DEP_1) | instskip(NEXT) | instid1(VALU_DEP_1)
	v_sub_nc_u16 v2, v4, v1
	v_lshrrev_b16 v2, 1, v2
	s_delay_alu instid0(VALU_DEP_1) | instskip(SKIP_1) | instid1(VALU_DEP_2)
	v_add_nc_u16 v1, v2, v1
	v_and_b32_e32 v2, 0xffff, v10
	v_lshrrev_b16 v23, 2, v1
	s_delay_alu instid0(VALU_DEP_2) | instskip(SKIP_2) | instid1(VALU_DEP_3)
	v_mul_u32_u24_e32 v2, 0x2493, v2
	v_mul_lo_u16 v1, v0, 7
	v_and_b32_e32 v0, 0xffff, v0
	v_lshrrev_b32_e32 v2, 16, v2
	s_delay_alu instid0(VALU_DEP_3) | instskip(NEXT) | instid1(VALU_DEP_3)
	v_sub_nc_u16 v1, v12, v1
	v_mul_u32_u24_e32 v0, 28, v0
	s_delay_alu instid0(VALU_DEP_3) | instskip(NEXT) | instid1(VALU_DEP_3)
	v_sub_nc_u16 v3, v10, v2
	v_and_b32_e32 v6, 0xff, v1
	s_delay_alu instid0(VALU_DEP_2) | instskip(NEXT) | instid1(VALU_DEP_2)
	v_lshrrev_b16 v3, 1, v3
	v_add_lshl_u32 v65, v0, v6, 2
	s_delay_alu instid0(VALU_DEP_2) | instskip(SKIP_1) | instid1(VALU_DEP_2)
	v_add_nc_u16 v13, v3, v2
	v_and_b32_e32 v2, 0xffff, v11
	v_lshrrev_b16 v48, 2, v13
	s_delay_alu instid0(VALU_DEP_2) | instskip(NEXT) | instid1(VALU_DEP_1)
	v_mul_u32_u24_e32 v2, 0x2493, v2
	v_lshrrev_b32_e32 v2, 16, v2
	s_delay_alu instid0(VALU_DEP_1) | instskip(NEXT) | instid1(VALU_DEP_1)
	v_sub_nc_u16 v3, v11, v2
	v_lshrrev_b16 v3, 1, v3
	s_delay_alu instid0(VALU_DEP_1) | instskip(SKIP_1) | instid1(VALU_DEP_2)
	v_add_nc_u16 v14, v3, v2
	v_and_b32_e32 v2, 0xffff, v24
	v_lshrrev_b16 v59, 2, v14
	s_delay_alu instid0(VALU_DEP_2) | instskip(NEXT) | instid1(VALU_DEP_1)
	v_mul_u32_u24_e32 v2, 0x2493, v2
	v_lshrrev_b32_e32 v2, 16, v2
	s_delay_alu instid0(VALU_DEP_1) | instskip(NEXT) | instid1(VALU_DEP_1)
	v_sub_nc_u16 v3, v24, v2
	v_lshrrev_b16 v3, 1, v3
	s_delay_alu instid0(VALU_DEP_1) | instskip(SKIP_1) | instid1(VALU_DEP_2)
	;; [unrolled: 10-line block ×3, first 2 shown]
	v_add_nc_u16 v17, v3, v2
	v_and_b32_e32 v2, 0xffff, v26
	v_lshrrev_b16 v63, 2, v17
	s_delay_alu instid0(VALU_DEP_2) | instskip(NEXT) | instid1(VALU_DEP_1)
	v_mul_u32_u24_e32 v2, 0x2493, v2
	v_lshrrev_b32_e32 v2, 16, v2
	s_delay_alu instid0(VALU_DEP_1) | instskip(NEXT) | instid1(VALU_DEP_1)
	v_sub_nc_u16 v3, v26, v2
	v_lshrrev_b16 v3, 1, v3
	s_delay_alu instid0(VALU_DEP_1) | instskip(SKIP_1) | instid1(VALU_DEP_1)
	v_add_nc_u16 v19, v3, v2
	v_mul_lo_u16 v2, v23, 7
	v_sub_nc_u16 v31, v4, v2
	v_mad_u64_u32 v[2:3], null, v6, 12, s[6:7]
	s_delay_alu instid0(VALU_DEP_2) | instskip(SKIP_1) | instid1(VALU_DEP_2)
	v_mul_lo_u16 v1, v31, 12
	v_mad_u16 v23, v23, 28, v31
	v_and_b32_e32 v1, 0xffff, v1
	s_delay_alu instid0(VALU_DEP_1) | instskip(NEXT) | instid1(VALU_DEP_1)
	v_add_co_u32 v0, s2, s6, v1
	v_add_co_ci_u32_e64 v1, null, s7, 0, s2
	s_clause 0x1
	global_load_b96 v[32:34], v[2:3], off
	global_load_b96 v[41:43], v[0:1], off
	ds_load_2addr_b32 v[0:1], v128 offset0:24 offset1:220
	s_waitcnt lgkmcnt(0)
	v_lshrrev_b32_e32 v2, 16, v1
	s_waitcnt vmcnt(1)
	v_lshrrev_b32_e32 v3, 16, v32
	v_lshrrev_b32_e32 v7, 16, v34
	;; [unrolled: 1-line block ×3, first 2 shown]
	s_delay_alu instid0(VALU_DEP_3) | instskip(SKIP_1) | instid1(VALU_DEP_2)
	v_mul_f16_e32 v16, v1, v3
	v_mul_f16_e32 v8, v2, v3
	v_fmac_f16_e32 v16, v2, v32
	ds_load_2addr_b32 v[2:3], v157 offset0:16 offset1:212
	v_fma_f16 v1, v1, v32, -v8
	s_waitcnt lgkmcnt(0)
	v_lshrrev_b32_e32 v6, 16, v3
	v_mul_f16_e32 v18, v3, v7
	s_delay_alu instid0(VALU_DEP_2) | instskip(NEXT) | instid1(VALU_DEP_2)
	v_mul_f16_e32 v9, v6, v7
	v_fmac_f16_e32 v18, v6, v34
	ds_load_2addr_b32 v[6:7], v194 offset0:56 offset1:252
	v_fma_f16 v3, v3, v34, -v9
	ds_load_2addr_b32 v[8:9], v155 offset1:196
	v_sub_f16_e32 v18, v16, v18
	v_sub_f16_e32 v3, v1, v3
	s_delay_alu instid0(VALU_DEP_2) | instskip(NEXT) | instid1(VALU_DEP_2)
	v_fma_f16 v16, v16, 2.0, -v18
	v_fma_f16 v1, v1, 2.0, -v3
	s_waitcnt lgkmcnt(1)
	v_lshrrev_b32_e32 v20, 16, v6
	v_mul_f16_e32 v21, v6, v22
	s_delay_alu instid0(VALU_DEP_1) | instskip(SKIP_1) | instid1(VALU_DEP_1)
	v_fmac_f16_e32 v21, v20, v33
	v_mul_f16_e32 v20, v20, v22
	v_fma_f16 v6, v6, v33, -v20
	s_waitcnt lgkmcnt(0)
	v_lshrrev_b32_e32 v20, 16, v8
	s_delay_alu instid0(VALU_DEP_2) | instskip(NEXT) | instid1(VALU_DEP_2)
	v_sub_f16_e32 v6, v8, v6
	v_sub_f16_e32 v21, v20, v21
	s_delay_alu instid0(VALU_DEP_2) | instskip(NEXT) | instid1(VALU_DEP_2)
	v_fma_f16 v8, v8, 2.0, -v6
	v_fma_f16 v20, v20, 2.0, -v21
	v_sub_f16_e32 v46, v6, v18
	v_add_f16_e32 v47, v21, v3
	s_delay_alu instid0(VALU_DEP_4) | instskip(NEXT) | instid1(VALU_DEP_4)
	v_sub_f16_e32 v44, v8, v1
	v_sub_f16_e32 v45, v20, v16
	s_delay_alu instid0(VALU_DEP_3) | instskip(NEXT) | instid1(VALU_DEP_3)
	v_fma_f16 v3, v21, 2.0, -v47
	v_fma_f16 v1, v8, 2.0, -v44
	s_delay_alu instid0(VALU_DEP_3) | instskip(NEXT) | instid1(VALU_DEP_1)
	v_fma_f16 v8, v20, 2.0, -v45
	v_pack_b32_f16 v8, v1, v8
	v_fma_f16 v1, v6, 2.0, -v46
	s_delay_alu instid0(VALU_DEP_1) | instskip(SKIP_1) | instid1(VALU_DEP_1)
	v_pack_b32_f16 v6, v1, v3
	v_mul_lo_u16 v1, v48, 7
	v_sub_nc_u16 v49, v10, v1
	s_delay_alu instid0(VALU_DEP_1) | instskip(NEXT) | instid1(VALU_DEP_1)
	v_mul_lo_u16 v1, v49, 12
	v_and_b32_e32 v1, 0xffff, v1
	s_delay_alu instid0(VALU_DEP_1) | instskip(SKIP_2) | instid1(VALU_DEP_2)
	v_add_co_u32 v13, s2, s6, v1
	v_mul_lo_u16 v1, v59, 7
	v_add_co_ci_u32_e64 v14, null, s7, 0, s2
	v_sub_nc_u16 v61, v11, v1
	v_mul_lo_u16 v1, v60, 7
	s_delay_alu instid0(VALU_DEP_1) | instskip(NEXT) | instid1(VALU_DEP_3)
	v_sub_nc_u16 v62, v24, v1
	v_mul_lo_u16 v1, v61, 12
	s_delay_alu instid0(VALU_DEP_2) | instskip(NEXT) | instid1(VALU_DEP_2)
	v_mul_lo_u16 v3, v62, 12
	v_and_b32_e32 v1, 0xffff, v1
	s_delay_alu instid0(VALU_DEP_2) | instskip(NEXT) | instid1(VALU_DEP_2)
	v_and_b32_e32 v3, 0xffff, v3
	v_add_co_u32 v15, s2, s6, v1
	s_delay_alu instid0(VALU_DEP_1) | instskip(NEXT) | instid1(VALU_DEP_3)
	v_add_co_ci_u32_e64 v16, null, s7, 0, s2
	v_add_co_u32 v17, s2, s6, v3
	v_lshrrev_b16 v1, 2, v19
	v_mul_lo_u16 v3, v63, 7
	v_add_co_ci_u32_e64 v18, null, s7, 0, s2
	s_delay_alu instid0(VALU_DEP_2) | instskip(NEXT) | instid1(VALU_DEP_4)
	v_sub_nc_u16 v64, v25, v3
	v_mul_lo_u16 v3, v1, 7
	s_delay_alu instid0(VALU_DEP_2) | instskip(NEXT) | instid1(VALU_DEP_2)
	v_mul_lo_u16 v19, v64, 12
	v_sub_nc_u16 v3, v26, v3
	s_delay_alu instid0(VALU_DEP_2) | instskip(NEXT) | instid1(VALU_DEP_2)
	v_and_b32_e32 v19, 0xffff, v19
	v_mul_lo_u16 v20, v3, 12
	v_mad_u16 v1, v1, 28, v3
	s_delay_alu instid0(VALU_DEP_3) | instskip(NEXT) | instid1(VALU_DEP_3)
	v_add_co_u32 v19, s2, s6, v19
	v_and_b32_e32 v21, 0xffff, v20
	v_add_co_ci_u32_e64 v20, null, s7, 0, s2
	s_delay_alu instid0(VALU_DEP_4) | instskip(NEXT) | instid1(VALU_DEP_3)
	v_and_b32_e32 v1, 0xffff, v1
	v_add_co_u32 v21, s2, s6, v21
	s_delay_alu instid0(VALU_DEP_1)
	v_add_co_ci_u32_e64 v22, null, s7, 0, s2
	s_clause 0x4
	global_load_b96 v[50:52], v[13:14], off
	global_load_b96 v[173:175], v[15:16], off
	;; [unrolled: 1-line block ×5, first 2 shown]
	ds_load_2addr_b32 v[13:14], v162 offset0:32 offset1:228
	ds_load_2addr_b32 v[15:16], v134 offset0:24 offset1:220
	;; [unrolled: 1-line block ×3, first 2 shown]
	ds_load_2addr_b32 v[19:20], v159 offset1:196
	ds_load_2addr_b32 v[21:22], v127 offset0:40 offset1:236
	ds_load_2addr_b32 v[27:28], v151 offset0:32 offset1:228
	ds_load_2addr_b32 v[29:30], v161 offset0:16 offset1:212
	ds_load_2addr_b32 v[53:54], v135 offset0:8 offset1:204
	ds_load_2addr_b32 v[55:56], v160 offset0:48 offset1:244
	ds_load_2addr_b32 v[57:58], v193 offset0:40 offset1:236
	s_waitcnt vmcnt(0) lgkmcnt(0)
	s_barrier
	buffer_gl0_inv
	ds_store_2addr_b32 v65, v8, v6 offset1:7
	v_pack_b32_f16 v6, v44, v45
	v_pack_b32_f16 v8, v46, v47
	v_lshrrev_b32_e32 v44, 16, v42
	v_lshrrev_b32_e32 v45, 16, v41
	;; [unrolled: 1-line block ×3, first 2 shown]
	v_lshlrev_b32_e32 v143, 2, v1
	ds_store_2addr_b32 v65, v6, v8 offset0:14 offset1:21
	v_lshrrev_b32_e32 v6, 16, v7
	v_lshrrev_b32_e32 v31, 16, v13
	v_mul_f16_e32 v46, v15, v47
	s_delay_alu instid0(VALU_DEP_3) | instskip(NEXT) | instid1(VALU_DEP_1)
	v_mul_f16_e32 v8, v6, v44
	v_fma_f16 v8, v7, v42, -v8
	v_mul_f16_e32 v7, v7, v44
	v_mul_f16_e32 v44, v13, v45
	s_delay_alu instid0(VALU_DEP_2) | instskip(NEXT) | instid1(VALU_DEP_2)
	v_fmac_f16_e32 v7, v6, v42
	v_fmac_f16_e32 v44, v31, v41
	v_mul_f16_e32 v31, v31, v45
	v_lshrrev_b32_e32 v45, 16, v15
	v_sub_f16_e32 v6, v9, v8
	v_lshrrev_b32_e32 v8, 16, v9
	s_delay_alu instid0(VALU_DEP_4) | instskip(NEXT) | instid1(VALU_DEP_4)
	v_fma_f16 v13, v13, v41, -v31
	v_fmac_f16_e32 v46, v45, v43
	v_mul_f16_e32 v45, v45, v47
	s_delay_alu instid0(VALU_DEP_4) | instskip(SKIP_1) | instid1(VALU_DEP_4)
	v_sub_f16_e32 v7, v8, v7
	v_fma_f16 v9, v9, 2.0, -v6
	v_sub_f16_e32 v31, v44, v46
	s_delay_alu instid0(VALU_DEP_4) | instskip(NEXT) | instid1(VALU_DEP_4)
	v_fma_f16 v15, v15, v43, -v45
	v_fma_f16 v8, v8, 2.0, -v7
	s_delay_alu instid0(VALU_DEP_3) | instskip(NEXT) | instid1(VALU_DEP_3)
	v_fma_f16 v44, v44, 2.0, -v31
	v_sub_f16_e32 v15, v13, v15
	s_delay_alu instid0(VALU_DEP_2) | instskip(NEXT) | instid1(VALU_DEP_2)
	v_sub_f16_e32 v44, v8, v44
	v_fma_f16 v13, v13, 2.0, -v15
	v_add_f16_e32 v15, v7, v15
	s_delay_alu instid0(VALU_DEP_3) | instskip(NEXT) | instid1(VALU_DEP_3)
	v_fma_f16 v8, v8, 2.0, -v44
	v_sub_f16_e32 v13, v9, v13
	s_delay_alu instid0(VALU_DEP_3) | instskip(NEXT) | instid1(VALU_DEP_2)
	v_fma_f16 v7, v7, 2.0, -v15
	v_fma_f16 v9, v9, 2.0, -v13
	s_delay_alu instid0(VALU_DEP_1) | instskip(SKIP_1) | instid1(VALU_DEP_1)
	v_pack_b32_f16 v8, v9, v8
	v_sub_f16_e32 v9, v6, v31
	v_fma_f16 v6, v6, 2.0, -v9
	s_delay_alu instid0(VALU_DEP_1) | instskip(SKIP_1) | instid1(VALU_DEP_1)
	v_pack_b32_f16 v6, v6, v7
	v_and_b32_e32 v7, 0xffff, v23
	v_lshlrev_b32_e32 v7, 2, v7
	ds_store_2addr_b32 v7, v8, v6 offset1:7
	v_mov_b32_e32 v8, v7
	v_pack_b32_f16 v6, v13, v44
	v_pack_b32_f16 v7, v9, v15
	scratch_store_b32 off, v65, off offset:144 ; 4-byte Folded Spill
	v_lshrrev_b32_e32 v9, 16, v16
	scratch_store_b32 off, v8, off offset:148 ; 4-byte Folded Spill
	ds_store_2addr_b32 v8, v6, v7 offset0:14 offset1:21
	v_lshrrev_b32_e32 v6, 16, v14
	v_lshrrev_b32_e32 v154, 16, v50
	;; [unrolled: 1-line block ×6, first 2 shown]
	v_mul_f16_e64 v7, v6, v154
	v_mul_f16_e64 v8, v14, v154
	;; [unrolled: 1-line block ×3, first 2 shown]
	v_lshrrev_b32_e32 v197, 16, v118
	v_lshrrev_b32_e32 v198, 16, v117
	v_fma_f16 v7, v14, v50, -v7
	v_lshrrev_b32_e32 v14, 16, v52
	v_fmac_f16_e32 v8, v6, v50
	v_mad_u16 v6, v48, 28, v49
	v_lshrrev_b32_e32 v199, 16, v116
	v_lshrrev_b32_e32 v205, 16, v39
	v_mul_f16_e32 v13, v9, v14
	v_mul_f16_e32 v14, v16, v14
	v_and_b32_e32 v6, 0xffff, v6
	v_lshrrev_b32_e32 v207, 16, v38
	v_lshrrev_b32_e32 v206, 16, v40
	v_fma_f16 v13, v16, v52, -v13
	v_fmac_f16_e32 v14, v9, v52
	v_lshrrev_b32_e32 v9, 16, v19
	v_lshrrev_b32_e32 v16, 16, v17
	;; [unrolled: 1-line block ×3, first 2 shown]
	v_sub_f16_e32 v13, v7, v13
	v_sub_f16_e32 v14, v8, v14
	v_fmac_f16_e32 v15, v9, v51
	v_mul_f16_e64 v9, v9, v150
	v_lshrrev_b32_e32 v211, 16, v35
	v_fma_f16 v7, v7, 2.0, -v13
	v_fma_f16 v8, v8, 2.0, -v14
	v_sub_f16_e32 v15, v16, v15
	v_fma_f16 v9, v19, v51, -v9
	v_lshrrev_b32_e32 v209, 16, v37
	s_delay_alu instid0(VALU_DEP_3) | instskip(NEXT) | instid1(VALU_DEP_3)
	v_fma_f16 v16, v16, 2.0, -v15
	v_sub_f16_e32 v9, v17, v9
	v_add_f16_e32 v13, v15, v13
	s_delay_alu instid0(VALU_DEP_3) | instskip(NEXT) | instid1(VALU_DEP_3)
	v_sub_f16_e32 v8, v16, v8
	v_fma_f16 v17, v17, 2.0, -v9
	v_sub_f16_e32 v14, v9, v14
	s_delay_alu instid0(VALU_DEP_4) | instskip(NEXT) | instid1(VALU_DEP_4)
	v_fma_f16 v15, v15, 2.0, -v13
	v_fma_f16 v16, v16, 2.0, -v8
	s_delay_alu instid0(VALU_DEP_4) | instskip(NEXT) | instid1(VALU_DEP_4)
	v_sub_f16_e32 v7, v17, v7
	v_fma_f16 v9, v9, 2.0, -v14
	s_delay_alu instid0(VALU_DEP_2) | instskip(NEXT) | instid1(VALU_DEP_2)
	v_fma_f16 v17, v17, 2.0, -v7
	v_pack_b32_f16 v9, v9, v15
	v_lshlrev_b32_e32 v15, 2, v6
	v_pack_b32_f16 v6, v7, v8
	v_pack_b32_f16 v7, v14, v13
	;; [unrolled: 1-line block ×3, first 2 shown]
	v_lshrrev_b32_e32 v14, 16, v21
	scratch_store_b32 off, v15, off offset:152 ; 4-byte Folded Spill
	v_mul_f16_e32 v17, v27, v123
	ds_store_2addr_b32 v15, v6, v7 offset0:14 offset1:21
	v_lshrrev_b32_e32 v6, 16, v20
	ds_store_2addr_b32 v15, v16, v9 offset1:7
	v_mul_f16_e32 v15, v21, v115
	v_lshrrev_b32_e32 v16, 16, v27
	v_mul_f16_e64 v8, v20, v138
	v_mul_f16_e64 v7, v6, v138
	v_mad_u16 v13, v59, 28, v61
	v_fmac_f16_e64 v15, v14, v173
	v_mul_f16_e32 v14, v14, v115
	v_fmac_f16_e64 v17, v16, v175
	v_fma_f16 v7, v20, v174, -v7
	v_mul_f16_e32 v16, v16, v123
	v_fmac_f16_e64 v8, v6, v174
	v_fma_f16 v14, v21, v173, -v14
	v_sub_f16_e32 v17, v15, v17
	v_sub_f16_e32 v6, v18, v7
	v_lshrrev_b32_e32 v7, 16, v18
	v_fma_f16 v16, v27, v175, -v16
	s_delay_alu instid0(VALU_DEP_4) | instskip(NEXT) | instid1(VALU_DEP_4)
	v_fma_f16 v15, v15, 2.0, -v17
	v_fma_f16 v9, v18, 2.0, -v6
	s_delay_alu instid0(VALU_DEP_4) | instskip(NEXT) | instid1(VALU_DEP_4)
	v_sub_f16_e32 v8, v7, v8
	v_sub_f16_e32 v16, v14, v16
	s_delay_alu instid0(VALU_DEP_2) | instskip(NEXT) | instid1(VALU_DEP_2)
	v_fma_f16 v7, v7, 2.0, -v8
	v_fma_f16 v14, v14, 2.0, -v16
	v_add_f16_e32 v16, v8, v16
	s_delay_alu instid0(VALU_DEP_3) | instskip(NEXT) | instid1(VALU_DEP_3)
	v_sub_f16_e32 v15, v7, v15
	v_sub_f16_e32 v14, v9, v14
	s_delay_alu instid0(VALU_DEP_3) | instskip(NEXT) | instid1(VALU_DEP_3)
	v_fma_f16 v8, v8, 2.0, -v16
	v_fma_f16 v7, v7, 2.0, -v15
	s_delay_alu instid0(VALU_DEP_3) | instskip(NEXT) | instid1(VALU_DEP_1)
	v_fma_f16 v9, v9, 2.0, -v14
	v_pack_b32_f16 v7, v9, v7
	v_sub_f16_e32 v9, v6, v17
	s_delay_alu instid0(VALU_DEP_1) | instskip(NEXT) | instid1(VALU_DEP_1)
	v_fma_f16 v6, v6, 2.0, -v9
	v_pack_b32_f16 v6, v6, v8
	v_and_b32_e32 v8, 0xffff, v13
	s_delay_alu instid0(VALU_DEP_1)
	v_lshlrev_b32_e32 v8, 2, v8
	ds_store_2addr_b32 v8, v7, v6 offset1:7
	v_pack_b32_f16 v6, v14, v15
	v_pack_b32_f16 v7, v9, v16
	v_lshrrev_b32_e32 v9, 16, v28
	v_mul_f16_e64 v14, v28, v197
	v_mul_f16_e64 v15, v53, v198
	scratch_store_b32 off, v8, off offset:156 ; 4-byte Folded Spill
	ds_store_2addr_b32 v8, v6, v7 offset0:14 offset1:21
	v_lshrrev_b32_e32 v6, 16, v22
	v_mul_f16_e64 v13, v9, v197
	v_fmac_f16_e32 v14, v9, v118
	v_lshrrev_b32_e32 v9, 16, v53
	v_mul_f16_e64 v8, v22, v199
	v_mul_f16_e64 v7, v6, v199
	v_fma_f16 v13, v28, v118, -v13
	v_lshrrev_b32_e32 v16, 16, v29
	v_fmac_f16_e32 v15, v9, v117
	v_mul_f16_e64 v9, v9, v198
	v_fma_f16 v7, v22, v116, -v7
	v_fmac_f16_e32 v8, v6, v116
	v_mad_u16 v6, v60, 28, v62
	v_sub_f16_e32 v15, v16, v15
	v_fma_f16 v9, v53, v117, -v9
	v_sub_f16_e32 v13, v7, v13
	v_sub_f16_e32 v14, v8, v14
	v_and_b32_e32 v6, 0xffff, v6
	v_fma_f16 v16, v16, 2.0, -v15
	v_sub_f16_e32 v9, v29, v9
	v_fma_f16 v7, v7, 2.0, -v13
	v_fma_f16 v8, v8, 2.0, -v14
	v_add_f16_e32 v13, v15, v13
	v_lshlrev_b32_e32 v6, 2, v6
	v_fma_f16 v17, v29, 2.0, -v9
	v_sub_f16_e32 v14, v9, v14
	v_sub_f16_e32 v8, v16, v8
	v_fma_f16 v15, v15, 2.0, -v13
	s_delay_alu instid0(VALU_DEP_4) | instskip(NEXT) | instid1(VALU_DEP_4)
	v_sub_f16_e32 v7, v17, v7
	v_fma_f16 v9, v9, 2.0, -v14
	s_delay_alu instid0(VALU_DEP_4) | instskip(NEXT) | instid1(VALU_DEP_3)
	v_fma_f16 v16, v16, 2.0, -v8
	v_fma_f16 v17, v17, 2.0, -v7
	s_delay_alu instid0(VALU_DEP_3) | instskip(SKIP_1) | instid1(VALU_DEP_3)
	v_pack_b32_f16 v9, v9, v15
	v_mul_f16_e64 v15, v55, v207
	v_pack_b32_f16 v16, v17, v16
	v_mul_f16_e64 v17, v57, v206
	ds_store_2addr_b32 v6, v16, v9 offset1:7
	v_mov_b32_e32 v9, v6
	v_pack_b32_f16 v6, v7, v8
	v_pack_b32_f16 v7, v14, v13
	v_lshrrev_b32_e32 v14, 16, v55
	v_lshrrev_b32_e32 v16, 16, v57
	v_mul_f16_e64 v8, v54, v205
	scratch_store_b32 off, v9, off offset:160 ; 4-byte Folded Spill
	ds_store_2addr_b32 v9, v6, v7 offset0:14 offset1:21
	v_lshrrev_b32_e32 v6, 16, v54
	v_fmac_f16_e32 v15, v14, v38
	v_mul_f16_e64 v14, v14, v207
	v_fmac_f16_e32 v17, v16, v40
	v_mul_f16_e64 v16, v16, v206
	v_mul_f16_e64 v7, v6, v205
	v_fmac_f16_e32 v8, v6, v39
	v_fma_f16 v14, v55, v38, -v14
	v_sub_f16_e32 v17, v15, v17
	v_fma_f16 v16, v57, v40, -v16
	v_fma_f16 v7, v54, v39, -v7
	v_mad_u16 v13, v63, 28, v64
	s_delay_alu instid0(VALU_DEP_4) | instskip(NEXT) | instid1(VALU_DEP_4)
	v_fma_f16 v15, v15, 2.0, -v17
	v_sub_f16_e32 v16, v14, v16
	s_delay_alu instid0(VALU_DEP_4) | instskip(SKIP_1) | instid1(VALU_DEP_3)
	v_sub_f16_e32 v6, v30, v7
	v_lshrrev_b32_e32 v7, 16, v30
	v_fma_f16 v14, v14, 2.0, -v16
	s_delay_alu instid0(VALU_DEP_3) | instskip(NEXT) | instid1(VALU_DEP_3)
	v_fma_f16 v9, v30, 2.0, -v6
	v_sub_f16_e32 v8, v7, v8
	s_delay_alu instid0(VALU_DEP_2) | instskip(NEXT) | instid1(VALU_DEP_2)
	v_sub_f16_e32 v14, v9, v14
	v_fma_f16 v7, v7, 2.0, -v8
	v_add_f16_e32 v16, v8, v16
	s_delay_alu instid0(VALU_DEP_3) | instskip(NEXT) | instid1(VALU_DEP_3)
	v_fma_f16 v9, v9, 2.0, -v14
	v_sub_f16_e32 v15, v7, v15
	s_delay_alu instid0(VALU_DEP_3) | instskip(NEXT) | instid1(VALU_DEP_2)
	v_fma_f16 v8, v8, 2.0, -v16
	v_fma_f16 v7, v7, 2.0, -v15
	s_delay_alu instid0(VALU_DEP_1) | instskip(SKIP_1) | instid1(VALU_DEP_1)
	v_pack_b32_f16 v7, v9, v7
	v_sub_f16_e32 v9, v6, v17
	v_fma_f16 v6, v6, 2.0, -v9
	s_delay_alu instid0(VALU_DEP_1) | instskip(SKIP_1) | instid1(VALU_DEP_1)
	v_pack_b32_f16 v6, v6, v8
	v_and_b32_e32 v8, 0xffff, v13
	v_lshlrev_b32_e32 v148, 2, v8
	v_mul_f16_e64 v8, v56, v211
	ds_store_2addr_b32 v148, v7, v6 offset1:7
	v_pack_b32_f16 v6, v14, v15
	v_pack_b32_f16 v7, v9, v16
	v_lshrrev_b32_e32 v9, 16, v2
	v_lshrrev_b32_e32 v14, 16, v58
	v_mul_f16_e64 v16, v58, v209
	ds_store_2addr_b32 v148, v6, v7 offset0:14 offset1:21
	v_lshrrev_b32_e32 v6, 16, v56
	v_mul_f16_e64 v13, v9, v208
	v_mul_f16_e64 v15, v14, v209
	v_fmac_f16_e32 v16, v14, v37
	s_delay_alu instid0(VALU_DEP_4) | instskip(NEXT) | instid1(VALU_DEP_4)
	v_mul_f16_e64 v7, v6, v211
	v_fma_f16 v13, v2, v36, -v13
	v_mul_f16_e64 v2, v2, v208
	v_fma_f16 v15, v58, v37, -v15
	v_fmac_f16_e32 v8, v6, v35
	v_fma_f16 v7, v56, v35, -v7
	v_sub_f16_e32 v6, v0, v13
	v_fmac_f16_e32 v2, v9, v36
	v_lshrrev_b32_e32 v9, 16, v0
	v_sub_f16_e32 v13, v8, v16
	v_sub_f16_e32 v3, v7, v15
	v_fma_f16 v0, v0, 2.0, -v6
	s_delay_alu instid0(VALU_DEP_4) | instskip(NEXT) | instid1(VALU_DEP_4)
	v_sub_f16_e32 v2, v9, v2
	v_fma_f16 v8, v8, 2.0, -v13
	s_delay_alu instid0(VALU_DEP_4) | instskip(NEXT) | instid1(VALU_DEP_3)
	v_fma_f16 v7, v7, 2.0, -v3
	v_fma_f16 v9, v9, 2.0, -v2
	v_add_f16_e32 v3, v2, v3
	s_delay_alu instid0(VALU_DEP_3) | instskip(NEXT) | instid1(VALU_DEP_3)
	v_sub_f16_e32 v7, v0, v7
	v_sub_f16_e32 v8, v9, v8
	s_delay_alu instid0(VALU_DEP_3) | instskip(NEXT) | instid1(VALU_DEP_3)
	v_fma_f16 v2, v2, 2.0, -v3
	v_fma_f16 v0, v0, 2.0, -v7
	s_delay_alu instid0(VALU_DEP_3) | instskip(NEXT) | instid1(VALU_DEP_1)
	v_fma_f16 v9, v9, 2.0, -v8
	v_pack_b32_f16 v0, v0, v9
	v_sub_f16_e32 v9, v6, v13
	s_delay_alu instid0(VALU_DEP_1) | instskip(SKIP_1) | instid1(VALU_DEP_2)
	v_fma_f16 v6, v6, 2.0, -v9
	v_pack_b32_f16 v1, v9, v3
	v_pack_b32_f16 v2, v6, v2
	ds_store_2addr_b32 v143, v0, v2 offset1:7
	v_pack_b32_f16 v0, v7, v8
	ds_store_2addr_b32 v143, v0, v1 offset0:14 offset1:21
	v_lshrrev_b16 v0, 2, v5
	v_lshrrev_b16 v1, 2, v4
	s_waitcnt lgkmcnt(0)
	s_waitcnt_vscnt null, 0x0
	s_barrier
	buffer_gl0_inv
	v_mul_lo_u16 v0, v0, 37
	v_and_b32_e32 v1, 0xffff, v1
	s_delay_alu instid0(VALU_DEP_2) | instskip(NEXT) | instid1(VALU_DEP_2)
	v_lshrrev_b16 v13, 8, v0
	v_mul_u32_u24_e32 v1, 0x4925, v1
	s_delay_alu instid0(VALU_DEP_2) | instskip(NEXT) | instid1(VALU_DEP_2)
	v_mul_lo_u16 v0, v13, 28
	v_lshrrev_b32_e32 v27, 17, v1
	v_and_b32_e32 v13, 0xffff, v13
	s_delay_alu instid0(VALU_DEP_3) | instskip(NEXT) | instid1(VALU_DEP_3)
	v_sub_nc_u16 v0, v12, v0
	v_mul_lo_u16 v1, v27, 28
	s_delay_alu instid0(VALU_DEP_3) | instskip(NEXT) | instid1(VALU_DEP_3)
	v_mul_u32_u24_e32 v13, 0xc4, v13
	v_and_b32_e32 v12, 0xff, v0
	s_delay_alu instid0(VALU_DEP_3) | instskip(NEXT) | instid1(VALU_DEP_2)
	v_sub_nc_u16 v28, v4, v1
	v_mad_u64_u32 v[0:1], null, v12, 24, s[6:7]
	s_clause 0x1
	global_load_b64 v[72:73], v[0:1], off offset:100
	global_load_b128 v[241:244], v[0:1], off offset:84
	ds_load_2addr_b32 v[4:5], v151 offset0:32 offset1:228
	ds_load_2addr_b32 v[6:7], v161 offset0:16 offset1:212
	;; [unrolled: 1-line block ×4, first 2 shown]
	ds_load_2addr_b32 v[55:56], v159 offset1:196
	ds_load_2addr_b32 v[57:58], v155 offset1:196
	v_add_lshl_u32 v185, v13, v12, 2
	s_waitcnt lgkmcnt(5)
	v_lshrrev_b32_e32 v2, 16, v4
	s_waitcnt lgkmcnt(4)
	v_lshrrev_b32_e32 v0, 16, v6
	s_waitcnt vmcnt(1)
	v_lshrrev_b32_e32 v8, 16, v73
	s_waitcnt vmcnt(0)
	v_lshrrev_b32_e32 v130, 16, v241
	v_lshrrev_b32_e32 v202, 16, v242
	;; [unrolled: 1-line block ×4, first 2 shown]
	v_mul_f16_e32 v3, v4, v8
	v_mul_f16_e64 v1, v6, v130
	v_lshrrev_b32_e32 v203, 16, v244
	s_delay_alu instid0(VALU_DEP_3)
	v_fmac_f16_e32 v3, v2, v73
	v_mul_f16_e32 v2, v2, v8
	ds_load_2addr_b32 v[8:9], v157 offset0:16 offset1:212
	v_fmac_f16_e64 v1, v0, v241
	v_mul_f16_e64 v0, v0, v130
	s_waitcnt lgkmcnt(2)
	v_mul_f16_e64 v15, v55, v203
	v_fma_f16 v2, v4, v73, -v2
	v_mul_f16_e64 v4, v29, v202
	v_fma_f16 v0, v6, v241, -v0
	s_delay_alu instid0(VALU_DEP_1)
	v_add_f16_e32 v16, v0, v2
	v_sub_f16_e32 v0, v0, v2
	v_add_f16_e32 v2, v1, v3
	v_sub_f16_e32 v1, v1, v3
	v_lshrrev_b32_e32 v3, 16, v29
	s_waitcnt lgkmcnt(0)
	v_lshrrev_b32_e32 v6, 16, v8
	v_mul_f16_e32 v14, v8, v109
	s_delay_alu instid0(VALU_DEP_3) | instskip(SKIP_1) | instid1(VALU_DEP_3)
	v_fmac_f16_e64 v4, v3, v242
	v_mul_f16_e64 v3, v3, v202
	v_fmac_f16_e32 v14, v6, v72
	v_mul_f16_e32 v6, v6, v109
	s_delay_alu instid0(VALU_DEP_3) | instskip(NEXT) | instid1(VALU_DEP_3)
	v_fma_f16 v3, v29, v242, -v3
	v_add_f16_e32 v17, v4, v14
	s_delay_alu instid0(VALU_DEP_3)
	v_fma_f16 v6, v8, v72, -v6
	v_sub_f16_e32 v18, v4, v14
	v_lshrrev_b32_e32 v4, 16, v53
	v_lshrrev_b32_e32 v14, 16, v55
	v_add_f16_e32 v13, v17, v2
	v_add_f16_e32 v8, v3, v6
	v_sub_f16_e32 v3, v3, v6
	v_mul_f16_e64 v6, v53, v204
	v_fmac_f16_e64 v15, v14, v244
	v_mul_f16_e64 v14, v14, v203
	v_add_f16_e32 v12, v8, v16
	s_delay_alu instid0(VALU_DEP_4) | instskip(SKIP_1) | instid1(VALU_DEP_4)
	v_fmac_f16_e64 v6, v4, v243
	v_mul_f16_e64 v4, v4, v204
	v_fma_f16 v14, v55, v244, -v14
	s_delay_alu instid0(VALU_DEP_2) | instskip(NEXT) | instid1(VALU_DEP_1)
	v_fma_f16 v4, v53, v243, -v4
	v_add_f16_e32 v19, v4, v14
	v_sub_f16_e32 v4, v14, v4
	v_add_f16_e32 v14, v6, v15
	v_sub_f16_e32 v6, v15, v6
	v_lshrrev_b32_e32 v15, 16, v57
	v_add_f16_e32 v12, v19, v12
	v_sub_f16_e32 v53, v0, v4
	v_add_f16_e32 v13, v14, v13
	v_sub_f16_e32 v49, v14, v17
	v_sub_f16_e32 v55, v1, v6
	v_add_f16_e32 v20, v57, v12
	s_delay_alu instid0(VALU_DEP_4) | instskip(NEXT) | instid1(VALU_DEP_2)
	v_add_f16_e32 v15, v15, v13
	v_fmamk_f16 v29, v12, 0xbcab, v20
	v_sub_f16_e32 v12, v16, v19
	s_delay_alu instid0(VALU_DEP_3)
	v_fmamk_f16 v31, v13, 0xbcab, v15
	v_pack_b32_f16 v48, v20, v15
	v_sub_f16_e32 v19, v19, v8
	v_sub_f16_e32 v13, v2, v14
	v_add_f16_e32 v14, v4, v3
	v_sub_f16_e32 v15, v4, v3
	v_add_f16_e32 v4, v6, v18
	v_sub_f16_e32 v20, v6, v18
	v_mul_f16_e32 v71, 0x3a52, v12
	v_mul_f16_e32 v79, 0x3a52, v13
	;; [unrolled: 1-line block ×3, first 2 shown]
	v_add_f16_e32 v78, v4, v1
	v_mul_f16_e32 v87, 0xb846, v20
	v_fmamk_f16 v4, v19, 0x2b26, v71
	v_add_f16_e32 v57, v14, v0
	v_fmamk_f16 v93, v53, 0x3574, v86
	v_sub_f16_e32 v0, v3, v0
	v_fmamk_f16 v92, v55, 0x3574, v87
	v_add_f16_e32 v88, v4, v29
	v_fmamk_f16 v4, v49, 0x2b26, v79
	v_fmac_f16_e32 v93, 0x370e, v57
	v_sub_f16_e32 v1, v18, v1
	v_fmac_f16_e32 v92, 0x370e, v78
	v_sub_f16_e32 v8, v8, v16
	v_add_f16_e32 v89, v4, v31
	v_sub_f16_e32 v2, v17, v2
	v_mul_f16_e32 v3, 0x2b26, v19
	v_add_f16_e32 v4, v92, v88
	v_lshrrev_b32_e32 v19, 16, v5
	v_sub_f16_e32 v6, v89, v93
	s_delay_alu instid0(VALU_DEP_4) | instskip(SKIP_1) | instid1(VALU_DEP_3)
	v_fma_f16 v3, v8, 0x39e0, -v3
	v_fma_f16 v8, v8, 0xb9e0, -v71
	v_pack_b32_f16 v94, v4, v6
	v_mul_lo_u16 v4, v28, 24
	s_delay_alu instid0(VALU_DEP_4) | instskip(NEXT) | instid1(VALU_DEP_4)
	v_add_f16_e32 v3, v3, v29
	v_add_f16_e32 v8, v8, v29
	s_delay_alu instid0(VALU_DEP_3) | instskip(NEXT) | instid1(VALU_DEP_1)
	v_and_b32_e32 v4, 0xffff, v4
	v_add_co_u32 v12, s2, s6, v4
	v_lshrrev_b16 v4, 2, v10
	v_add_co_ci_u32_e64 v13, null, s7, 0, s2
	s_delay_alu instid0(VALU_DEP_2) | instskip(SKIP_1) | instid1(VALU_DEP_2)
	v_and_b32_e32 v6, 0xffff, v4
	v_lshrrev_b16 v4, 2, v11
	v_mul_u32_u24_e32 v14, 0x4925, v6
	s_delay_alu instid0(VALU_DEP_2) | instskip(NEXT) | instid1(VALU_DEP_2)
	v_and_b32_e32 v4, 0xffff, v4
	v_lshrrev_b32_e32 v95, 17, v14
	s_delay_alu instid0(VALU_DEP_2) | instskip(NEXT) | instid1(VALU_DEP_1)
	v_mul_u32_u24_e32 v14, 0x4925, v4
	v_lshrrev_b32_e32 v96, 17, v14
	s_delay_alu instid0(VALU_DEP_3) | instskip(NEXT) | instid1(VALU_DEP_1)
	v_mul_lo_u16 v14, v95, 28
	v_sub_nc_u16 v98, v10, v14
	s_delay_alu instid0(VALU_DEP_3) | instskip(NEXT) | instid1(VALU_DEP_1)
	v_mul_lo_u16 v14, v96, 28
	v_sub_nc_u16 v99, v11, v14
	s_delay_alu instid0(VALU_DEP_3) | instskip(NEXT) | instid1(VALU_DEP_2)
	v_mul_lo_u16 v14, v98, 24
	v_mul_lo_u16 v15, v99, 24
	s_delay_alu instid0(VALU_DEP_2) | instskip(NEXT) | instid1(VALU_DEP_2)
	v_and_b32_e32 v14, 0xffff, v14
	v_and_b32_e32 v20, 0xffff, v15
	s_delay_alu instid0(VALU_DEP_2) | instskip(NEXT) | instid1(VALU_DEP_1)
	v_add_co_u32 v14, s2, s6, v14
	v_add_co_ci_u32_e64 v15, null, s7, 0, s2
	s_delay_alu instid0(VALU_DEP_3) | instskip(NEXT) | instid1(VALU_DEP_1)
	v_add_co_u32 v59, s2, s6, v20
	v_add_co_ci_u32_e64 v60, null, s7, 0, s2
	s_clause 0x5
	global_load_b64 v[84:85], v[12:13], off offset:100
	global_load_b128 v[20:23], v[12:13], off offset:84
	global_load_b64 v[82:83], v[14:15], off offset:100
	global_load_b128 v[178:181], v[14:15], off offset:84
	;; [unrolled: 2-line block ×3, first 2 shown]
	v_mul_f16_e32 v12, 0x2b26, v49
	v_fma_f16 v13, v0, 0x3b00, -v86
	v_mul_f16_e32 v0, 0xbb00, v0
	v_fma_f16 v14, v1, 0x3b00, -v87
	v_mul_f16_e32 v1, 0xbb00, v1
	v_fma_f16 v12, v2, 0x39e0, -v12
	v_fma_f16 v2, v2, 0xb9e0, -v79
	v_fmac_f16_e32 v0, 0xb574, v53
	v_fmac_f16_e32 v13, 0x370e, v57
	;; [unrolled: 1-line block ×3, first 2 shown]
	v_add_f16_e32 v12, v12, v31
	v_add_f16_e32 v2, v2, v31
	v_fmac_f16_e32 v0, 0x370e, v57
	v_fmac_f16_e32 v14, 0x370e, v78
	;; [unrolled: 1-line block ×3, first 2 shown]
	v_add_f16_e32 v17, v13, v12
	v_sub_f16_e32 v12, v12, v13
	v_sub_f16_e32 v16, v2, v0
	v_add_f16_e32 v0, v0, v2
	v_add_f16_e32 v15, v1, v8
	v_sub_f16_e32 v1, v8, v1
	ds_load_2addr_b32 v[59:60], v124 offset0:8 offset1:204
	ds_load_2addr_b32 v[61:62], v128 offset0:24 offset1:220
	;; [unrolled: 1-line block ×7, first 2 shown]
	s_waitcnt vmcnt(0) lgkmcnt(0)
	s_barrier
	v_pack_b32_f16 v15, v15, v16
	v_sub_f16_e32 v16, v3, v14
	v_add_f16_e32 v3, v14, v3
	v_pack_b32_f16 v0, v1, v0
	buffer_gl0_inv
	v_lshrrev_b32_e32 v8, 16, v54
	v_pack_b32_f16 v16, v16, v17
	v_pack_b32_f16 v2, v3, v12
	v_lshrrev_b32_e32 v17, 16, v9
	v_lshrrev_b32_e32 v14, 16, v56
	ds_store_2addr_b32 v185, v48, v94 offset1:28
	ds_store_2addr_b32 v185, v15, v16 offset0:56 offset1:84
	ds_store_2addr_b32 v185, v2, v0 offset0:112 offset1:140
	v_lshrrev_b32_e32 v0, 16, v7
	v_lshrrev_b32_e32 v236, 16, v84
	;; [unrolled: 1-line block ×6, first 2 shown]
	v_mul_f16_e64 v18, v17, v236
	v_mul_f16_e32 v2, v7, v97
	v_mul_f16_e32 v1, v0, v97
	v_mul_f16_e64 v29, v19, v237
	v_mul_f16_e32 v13, v54, v102
	v_lshrrev_b32_e32 v101, 16, v23
	v_fmac_f16_e32 v2, v0, v20
	v_lshrrev_b32_e32 v0, 16, v30
	v_fma_f16 v1, v7, v20, -v1
	v_mul_f16_e32 v7, v30, v100
	v_fma_f16 v18, v9, v84, -v18
	v_mul_f16_e64 v9, v9, v236
	v_mul_f16_e32 v3, v0, v100
	v_fma_f16 v29, v5, v85, -v29
	v_mul_f16_e64 v5, v5, v237
	v_mul_f16_e32 v12, v8, v102
	v_mul_f16_e32 v15, v14, v101
	v_fma_f16 v3, v30, v21, -v3
	v_mul_f16_e32 v16, v56, v101
	v_fmac_f16_e32 v7, v0, v21
	v_fmac_f16_e32 v13, v8, v22
	;; [unrolled: 1-line block ×4, first 2 shown]
	v_sub_f16_e32 v0, v88, v92
	v_add_f16_e32 v8, v93, v89
	v_fma_f16 v12, v54, v22, -v12
	v_fma_f16 v15, v56, v23, -v15
	v_fmac_f16_e32 v16, v14, v23
	v_add_f16_e32 v14, v1, v29
	v_add_f16_e32 v17, v2, v5
	v_sub_f16_e32 v2, v2, v5
	v_add_f16_e32 v5, v3, v18
	v_sub_f16_e32 v3, v3, v18
	v_add_f16_e32 v18, v7, v9
	v_pack_b32_f16 v0, v0, v8
	v_sub_f16_e32 v7, v7, v9
	v_add_f16_e32 v9, v12, v15
	v_sub_f16_e32 v12, v15, v12
	v_add_f16_e32 v15, v13, v16
	v_add_f16_e32 v8, v5, v14
	ds_store_b32 v185, v0 offset:672
	v_mad_u16 v0, 0xc4, v27, v28
	v_add_f16_e32 v27, v18, v17
	v_sub_f16_e32 v13, v16, v13
	v_add_f16_e32 v8, v9, v8
	v_lshrrev_b32_e32 v16, 16, v58
	v_sub_f16_e32 v1, v1, v29
	v_add_f16_e32 v27, v15, v27
	v_add_f16_e32 v29, v12, v3
	;; [unrolled: 1-line block ×3, first 2 shown]
	v_sub_f16_e32 v30, v12, v3
	v_sub_f16_e32 v12, v1, v12
	v_add_f16_e32 v16, v16, v27
	v_add_f16_e32 v31, v13, v7
	v_fmamk_f16 v8, v8, 0xbcab, v19
	v_sub_f16_e32 v48, v13, v7
	v_add_f16_e32 v29, v29, v1
	v_fmamk_f16 v27, v27, 0xbcab, v16
	v_pack_b32_f16 v16, v19, v16
	v_sub_f16_e32 v19, v14, v9
	v_sub_f16_e32 v9, v9, v5
	v_mul_f16_e32 v30, 0xb846, v30
	v_sub_f16_e32 v1, v3, v1
	v_sub_f16_e32 v28, v17, v15
	v_mul_f16_e32 v19, 0x3a52, v19
	v_sub_f16_e32 v15, v15, v18
	v_sub_f16_e32 v13, v2, v13
	v_add_f16_e32 v31, v31, v2
	v_mul_f16_e32 v48, 0xb846, v48
	v_fmamk_f16 v49, v9, 0x2b26, v19
	v_and_b32_e32 v0, 0xffff, v0
	v_sub_f16_e32 v2, v7, v2
	v_mul_f16_e32 v3, 0x2b26, v9
	v_fma_f16 v9, v1, 0x3b00, -v30
	v_mul_f16_e32 v1, 0xbb00, v1
	v_mul_f16_e32 v28, 0x3a52, v28
	v_fmamk_f16 v55, v12, 0x3574, v30
	v_lshlrev_b32_e32 v196, 2, v0
	v_sub_f16_e32 v0, v5, v14
	v_sub_f16_e32 v5, v18, v17
	v_mul_f16_e32 v7, 0x2b26, v15
	v_fmac_f16_e32 v1, 0xb574, v12
	v_fma_f16 v12, v2, 0x3b00, -v48
	v_mul_f16_e32 v2, 0xbb00, v2
	v_fma_f16 v3, v0, 0x39e0, -v3
	v_fma_f16 v0, v0, 0xb9e0, -v19
	;; [unrolled: 1-line block ×4, first 2 shown]
	v_fmac_f16_e32 v2, 0xb574, v13
	v_fmac_f16_e32 v1, 0x370e, v29
	v_add_f16_e32 v0, v0, v8
	v_add_f16_e32 v49, v49, v8
	;; [unrolled: 1-line block ×3, first 2 shown]
	v_fmac_f16_e32 v2, 0x370e, v31
	v_fmamk_f16 v54, v13, 0x3574, v48
	v_add_f16_e32 v3, v3, v8
	v_add_f16_e32 v7, v7, v27
	v_fmac_f16_e32 v9, 0x370e, v29
	v_fmac_f16_e32 v12, 0x370e, v31
	v_add_f16_e32 v8, v2, v0
	v_sub_f16_e32 v13, v5, v1
	v_sub_f16_e32 v0, v0, v2
	v_add_f16_e32 v14, v9, v7
	v_sub_f16_e32 v7, v7, v9
	v_add_f16_e32 v1, v1, v5
	v_pack_b32_f16 v8, v8, v13
	v_sub_f16_e32 v13, v3, v12
	v_add_f16_e32 v3, v12, v3
	v_lshrrev_b32_e32 v111, 16, v178
	v_pack_b32_f16 v0, v0, v1
	v_lshrrev_b32_e32 v245, 16, v83
	v_lshrrev_b32_e32 v5, 16, v76
	v_pack_b32_f16 v2, v3, v7
	v_mul_f16_e32 v3, v61, v111
	v_fmamk_f16 v53, v15, 0x2b26, v28
	v_mul_f16_e64 v7, v76, v245
	v_pack_b32_f16 v13, v13, v14
	ds_store_2addr_b32 v196, v2, v0 offset0:112 offset1:140
	v_lshrrev_b32_e32 v2, 16, v61
	v_lshrrev_b32_e32 v112, 16, v179
	v_fmac_f16_e32 v7, v5, v83
	v_mul_f16_e64 v5, v5, v245
	v_lshrrev_b32_e32 v249, 16, v82
	v_fmac_f16_e64 v3, v2, v178
	v_mul_f16_e32 v2, v2, v111
	v_add_f16_e32 v53, v53, v27
	v_fma_f16 v5, v76, v83, -v5
	v_fmac_f16_e32 v54, 0x370e, v31
	v_fmac_f16_e32 v55, 0x370e, v29
	v_fma_f16 v2, v61, v178, -v2
	ds_store_2addr_b32 v196, v8, v13 offset0:56 offset1:84
	v_mul_f16_e32 v9, v63, v112
	v_lshrrev_b32_e32 v12, 16, v69
	v_mul_f16_e64 v13, v69, v249
	v_add_f16_e32 v8, v2, v5
	v_sub_f16_e32 v2, v2, v5
	v_add_f16_e32 v5, v3, v7
	v_sub_f16_e32 v3, v3, v7
	v_lshrrev_b32_e32 v7, 16, v63
	v_add_f16_e32 v56, v54, v49
	v_sub_f16_e32 v57, v53, v55
	v_fmac_f16_e32 v13, v12, v82
	v_mul_f16_e64 v12, v12, v249
	v_fmac_f16_e64 v9, v7, v179
	v_mul_f16_e32 v7, v7, v112
	v_pack_b32_f16 v56, v56, v57
	v_sub_f16_e32 v0, v49, v54
	v_add_f16_e32 v1, v55, v53
	v_fma_f16 v12, v69, v82, -v12
	v_fma_f16 v7, v63, v179, -v7
	v_lshrrev_b32_e32 v142, 16, v180
	v_lshrrev_b32_e32 v131, 16, v181
	ds_store_2addr_b32 v196, v16, v56 offset1:28
	v_pack_b32_f16 v0, v0, v1
	v_add_f16_e32 v14, v7, v12
	v_sub_f16_e32 v7, v7, v12
	v_add_f16_e32 v12, v9, v13
	v_sub_f16_e32 v9, v9, v13
	v_lshrrev_b32_e32 v1, 16, v65
	v_mul_f16_e64 v13, v65, v142
	v_lshrrev_b32_e32 v15, 16, v67
	v_mul_f16_e64 v16, v67, v131
	v_add_f16_e32 v18, v12, v5
	v_lshrrev_b32_e32 v19, 16, v59
	v_fmac_f16_e64 v13, v1, v180
	v_mul_f16_e64 v1, v1, v142
	v_fmac_f16_e64 v16, v15, v181
	v_mul_f16_e64 v15, v15, v131
	ds_store_b32 v196, v0 offset:672
	v_mad_u16 v0, 0xc4, v95, v98
	v_fma_f16 v1, v65, v180, -v1
	v_lshrrev_b32_e32 v167, 16, v44
	v_fma_f16 v15, v67, v181, -v15
	v_lshrrev_b32_e32 v212, 16, v45
	v_and_b32_e32 v0, 0xffff, v0
	v_lshrrev_b32_e32 v163, 16, v80
	v_lshrrev_b32_e32 v147, 16, v81
	v_add_f16_e32 v17, v1, v15
	v_sub_f16_e32 v1, v15, v1
	v_add_f16_e32 v15, v13, v16
	v_sub_f16_e32 v13, v16, v13
	v_add_f16_e32 v16, v14, v8
	v_lshlrev_b32_e32 v200, 2, v0
	v_add_f16_e32 v29, v1, v7
	v_add_f16_e32 v18, v15, v18
	v_sub_f16_e32 v30, v1, v7
	v_add_f16_e32 v16, v17, v16
	v_sub_f16_e32 v1, v2, v1
	v_add_f16_e32 v31, v13, v9
	v_add_f16_e32 v19, v19, v18
	v_sub_f16_e32 v48, v13, v9
	v_add_f16_e32 v27, v59, v16
	v_add_f16_e32 v29, v29, v2
	v_mul_f16_e32 v30, 0xb846, v30
	v_sub_f16_e32 v2, v7, v2
	v_fmamk_f16 v18, v18, 0xbcab, v19
	v_fmamk_f16 v16, v16, 0xbcab, v27
	v_pack_b32_f16 v19, v27, v19
	v_sub_f16_e32 v27, v8, v17
	v_sub_f16_e32 v17, v17, v14
	;; [unrolled: 1-line block ×5, first 2 shown]
	v_add_f16_e32 v31, v31, v3
	v_mul_f16_e32 v48, 0xb846, v48
	v_sub_f16_e32 v3, v9, v3
	v_fma_f16 v9, v2, 0x3b00, -v30
	v_mul_f16_e32 v2, 0xbb00, v2
	v_mul_f16_e32 v27, 0x3a52, v27
	;; [unrolled: 1-line block ×3, first 2 shown]
	v_fmamk_f16 v55, v1, 0x3574, v30
	v_sub_f16_e32 v0, v14, v8
	v_sub_f16_e32 v5, v12, v5
	v_mul_f16_e32 v7, 0x2b26, v17
	v_mul_f16_e32 v8, 0x2b26, v15
	v_fmac_f16_e32 v2, 0xb574, v1
	v_fma_f16 v1, v3, 0x3b00, -v48
	v_mul_f16_e32 v3, 0xbb00, v3
	v_fma_f16 v7, v0, 0x39e0, -v7
	v_fma_f16 v0, v0, 0xb9e0, -v27
	;; [unrolled: 1-line block ×4, first 2 shown]
	v_fmac_f16_e32 v3, 0xb574, v13
	v_fmac_f16_e32 v2, 0x370e, v29
	v_add_f16_e32 v0, v0, v16
	v_fmamk_f16 v54, v13, 0x3574, v48
	v_add_f16_e32 v5, v5, v18
	v_fmac_f16_e32 v3, 0x370e, v31
	v_add_f16_e32 v7, v7, v16
	v_add_f16_e32 v8, v8, v18
	v_fmac_f16_e32 v9, 0x370e, v29
	v_fmac_f16_e32 v1, 0x370e, v31
	v_add_f16_e32 v12, v3, v0
	v_sub_f16_e32 v13, v5, v2
	v_fmamk_f16 v49, v17, 0x2b26, v27
	v_fmamk_f16 v53, v15, 0x2b26, v28
	v_sub_f16_e32 v0, v0, v3
	v_add_f16_e32 v2, v2, v5
	v_pack_b32_f16 v12, v12, v13
	v_sub_f16_e32 v13, v7, v1
	v_add_f16_e32 v1, v1, v7
	v_sub_f16_e32 v7, v8, v9
	v_add_f16_e32 v49, v49, v16
	v_add_f16_e32 v53, v53, v18
	v_fmac_f16_e32 v54, 0x370e, v31
	v_fmac_f16_e32 v55, 0x370e, v29
	v_pack_b32_f16 v1, v1, v7
	v_pack_b32_f16 v0, v0, v2
	v_add_f16_e32 v14, v9, v8
	v_add_f16_e32 v56, v54, v49
	v_sub_f16_e32 v57, v53, v55
	v_mul_f16_e64 v2, v62, v167
	ds_store_2addr_b32 v200, v1, v0 offset0:112 offset1:140
	v_lshrrev_b32_e32 v0, 16, v62
	v_pack_b32_f16 v13, v13, v14
	v_pack_b32_f16 v56, v56, v57
	v_lshrrev_b32_e32 v15, 16, v70
	v_lshrrev_b32_e32 v18, 16, v77
	v_mul_f16_e64 v1, v0, v167
	v_fmac_f16_e32 v2, v0, v44
	v_lshrrev_b32_e32 v0, 16, v64
	ds_store_2addr_b32 v200, v19, v56 offset1:28
	ds_store_2addr_b32 v200, v12, v13 offset0:56 offset1:84
	v_mul_f16_e64 v5, v64, v212
	v_lshrrev_b32_e32 v7, 16, v66
	v_mul_f16_e64 v3, v0, v212
	v_lshrrev_b32_e32 v165, 16, v46
	v_lshrrev_b32_e32 v12, 16, v68
	;; [unrolled: 1-line block ×3, first 2 shown]
	v_mul_f16_e64 v16, v15, v163
	v_mul_f16_e64 v17, v70, v163
	;; [unrolled: 1-line block ×4, first 2 shown]
	v_fma_f16 v1, v62, v44, -v1
	v_fma_f16 v3, v64, v45, -v3
	v_mul_f16_e64 v8, v7, v165
	v_mul_f16_e64 v9, v66, v165
	v_mul_f16_e64 v13, v12, v164
	v_mul_f16_e64 v14, v68, v164
	v_fma_f16 v16, v70, v80, -v16
	v_fma_f16 v19, v77, v81, -v19
	v_fmac_f16_e32 v5, v0, v45
	v_fmac_f16_e32 v17, v15, v80
	;; [unrolled: 1-line block ×3, first 2 shown]
	v_fma_f16 v8, v66, v46, -v8
	v_fma_f16 v13, v68, v47, -v13
	v_fmac_f16_e32 v9, v7, v46
	v_fmac_f16_e32 v14, v12, v47
	v_sub_f16_e32 v0, v49, v54
	v_add_f16_e32 v7, v55, v53
	v_add_f16_e32 v12, v1, v19
	v_add_f16_e32 v15, v2, v27
	v_add_f16_e32 v18, v3, v16
	v_sub_f16_e32 v3, v3, v16
	v_add_f16_e32 v16, v5, v17
	v_sub_f16_e32 v2, v2, v27
	v_sub_f16_e32 v5, v5, v17
	v_add_f16_e32 v17, v8, v13
	v_sub_f16_e32 v8, v13, v8
	v_add_f16_e32 v13, v9, v14
	v_pack_b32_f16 v0, v0, v7
	v_add_f16_e32 v7, v18, v12
	v_add_f16_e32 v27, v16, v15
	v_sub_f16_e32 v9, v14, v9
	v_lshrrev_b32_e32 v14, 16, v60
	v_sub_f16_e32 v1, v1, v19
	v_add_f16_e32 v7, v17, v7
	v_add_f16_e32 v27, v13, v27
	v_sub_f16_e32 v28, v15, v13
	v_add_f16_e32 v29, v8, v3
	v_sub_f16_e32 v30, v8, v3
	v_add_f16_e32 v19, v60, v7
	v_add_f16_e32 v14, v14, v27
	ds_store_b32 v200, v0 offset:672
	v_mad_u16 v0, 0xc4, v96, v99
	v_sub_f16_e32 v13, v13, v16
	v_fmamk_f16 v7, v7, 0xbcab, v19
	v_fmamk_f16 v27, v27, 0xbcab, v14
	v_pack_b32_f16 v14, v19, v14
	v_sub_f16_e32 v19, v12, v17
	v_sub_f16_e32 v8, v1, v8
	v_add_f16_e32 v31, v9, v5
	v_sub_f16_e32 v48, v9, v5
	v_add_f16_e32 v29, v29, v1
	v_mul_f16_e32 v28, 0x3a52, v28
	v_mul_f16_e32 v30, 0xb846, v30
	v_sub_f16_e32 v1, v3, v1
	v_sub_f16_e32 v17, v17, v18
	;; [unrolled: 1-line block ×3, first 2 shown]
	v_mul_f16_e32 v19, 0x3a52, v19
	v_add_f16_e32 v31, v31, v2
	v_mul_f16_e32 v48, 0xb846, v48
	v_fmamk_f16 v53, v13, 0x2b26, v28
	v_and_b32_e32 v0, 0xffff, v0
	v_sub_f16_e32 v2, v5, v2
	v_mul_f16_e32 v5, 0x2b26, v13
	v_fma_f16 v13, v1, 0x3b00, -v30
	v_mul_f16_e32 v1, 0xbb00, v1
	v_fmamk_f16 v49, v17, 0x2b26, v19
	v_fmamk_f16 v54, v9, 0x3574, v48
	v_fmamk_f16 v55, v8, 0x3574, v30
	v_lshlrev_b32_e32 v201, 2, v0
	v_sub_f16_e32 v0, v18, v12
	v_sub_f16_e32 v12, v16, v15
	v_mul_f16_e32 v3, 0x2b26, v17
	v_fmac_f16_e32 v1, 0xb574, v8
	v_fma_f16 v8, v2, 0x3b00, -v48
	v_mul_f16_e32 v2, 0xbb00, v2
	v_add_f16_e32 v49, v49, v7
	v_add_f16_e32 v53, v53, v27
	v_fmac_f16_e32 v54, 0x370e, v31
	v_fmac_f16_e32 v55, 0x370e, v29
	v_fma_f16 v3, v0, 0x39e0, -v3
	v_fma_f16 v0, v0, 0xb9e0, -v19
	v_fma_f16 v5, v12, 0x39e0, -v5
	v_fma_f16 v12, v12, 0xb9e0, -v28
	v_fmac_f16_e32 v2, 0xb574, v9
	v_add_f16_e32 v56, v54, v49
	v_sub_f16_e32 v57, v53, v55
	v_add_f16_e32 v3, v3, v7
	v_add_f16_e32 v0, v0, v7
	;; [unrolled: 1-line block ×3, first 2 shown]
	v_fmac_f16_e32 v1, 0x370e, v29
	v_fmac_f16_e32 v2, 0x370e, v31
	v_pack_b32_f16 v56, v56, v57
	v_add_f16_e32 v5, v5, v27
	v_fmac_f16_e32 v13, 0x370e, v29
	v_fmac_f16_e32 v8, 0x370e, v31
	v_add_f16_e32 v9, v2, v0
	v_sub_f16_e32 v12, v7, v1
	ds_store_2addr_b32 v201, v14, v56 offset1:28
	v_add_f16_e32 v14, v13, v5
	v_sub_f16_e32 v5, v5, v13
	v_sub_f16_e32 v0, v0, v2
	v_pack_b32_f16 v9, v9, v12
	v_sub_f16_e32 v12, v3, v8
	v_add_f16_e32 v3, v8, v3
	v_add_f16_e32 v1, v1, v7
	s_delay_alu instid0(VALU_DEP_3) | instskip(NEXT) | instid1(VALU_DEP_3)
	v_pack_b32_f16 v12, v12, v14
	v_pack_b32_f16 v2, v3, v5
	s_delay_alu instid0(VALU_DEP_3)
	v_pack_b32_f16 v0, v0, v1
	v_add_f16_e32 v1, v55, v53
	ds_store_2addr_b32 v201, v9, v12 offset0:56 offset1:84
	ds_store_2addr_b32 v201, v2, v0 offset0:112 offset1:140
	v_lshrrev_b16 v2, 2, v24
	v_sub_f16_e32 v0, v49, v54
	s_delay_alu instid0(VALU_DEP_2) | instskip(NEXT) | instid1(VALU_DEP_2)
	v_and_b32_e32 v2, 0xffff, v2
	v_pack_b32_f16 v0, v0, v1
	v_mul_u32_u24_e32 v1, 0xa73, v4
	s_delay_alu instid0(VALU_DEP_3)
	v_mul_u32_u24_e32 v2, 0xa73, v2
	ds_store_b32 v201, v0 offset:672
	v_mul_u32_u24_e32 v0, 0xa73, v6
	s_waitcnt lgkmcnt(0)
	s_barrier
	v_lshrrev_b32_e32 v2, 17, v2
	buffer_gl0_inv
	v_lshrrev_b32_e32 v0, 17, v0
	v_lshrrev_b32_e32 v1, 17, v1
	v_mul_lo_u16 v2, 0xc4, v2
	s_delay_alu instid0(VALU_DEP_3) | instskip(NEXT) | instid1(VALU_DEP_3)
	v_mul_lo_u16 v0, 0xc4, v0
	v_mul_lo_u16 v1, 0xc4, v1
	s_delay_alu instid0(VALU_DEP_3) | instskip(SKIP_1) | instid1(VALU_DEP_4)
	v_sub_nc_u16 v6, v24, v2
	v_lshrrev_b16 v2, 2, v25
	v_sub_nc_u16 v0, v10, v0
	v_mad_u64_u32 v[9:10], null, v145, 12, s[6:7]
	v_sub_nc_u16 v1, v11, v1
	s_delay_alu instid0(VALU_DEP_4) | instskip(NEXT) | instid1(VALU_DEP_1)
	v_and_b32_e32 v2, 0xffff, v2
	v_mul_u32_u24_e32 v2, 0xa73, v2
	s_delay_alu instid0(VALU_DEP_1) | instskip(NEXT) | instid1(VALU_DEP_1)
	v_lshrrev_b32_e32 v2, 17, v2
	v_mul_lo_u16 v2, 0xc4, v2
	s_delay_alu instid0(VALU_DEP_1) | instskip(SKIP_1) | instid1(VALU_DEP_1)
	v_sub_nc_u16 v5, v25, v2
	v_lshrrev_b16 v2, 2, v26
	v_and_b32_e32 v2, 0xffff, v2
	s_delay_alu instid0(VALU_DEP_1) | instskip(NEXT) | instid1(VALU_DEP_1)
	v_mul_u32_u24_e32 v2, 0xa73, v2
	v_lshrrev_b32_e32 v2, 17, v2
	s_delay_alu instid0(VALU_DEP_1) | instskip(NEXT) | instid1(VALU_DEP_1)
	v_mul_lo_u16 v2, 0xc4, v2
	v_sub_nc_u16 v4, v26, v2
	v_mul_lo_u16 v2, v0, 12
	v_and_b32_e32 v0, 0xffff, v0
	s_delay_alu instid0(VALU_DEP_2) | instskip(NEXT) | instid1(VALU_DEP_2)
	v_and_b32_e32 v2, 0xffff, v2
	v_lshlrev_b32_e32 v0, 2, v0
	s_delay_alu instid0(VALU_DEP_2) | instskip(NEXT) | instid1(VALU_DEP_1)
	v_add_co_u32 v7, s2, s6, v2
	v_add_co_ci_u32_e64 v8, null, s7, 0, s2
	s_clause 0x1
	global_load_b96 v[53:55], v[9:10], off offset:756
	global_load_b96 v[62:64], v[7:8], off offset:756
	ds_load_2addr_b32 v[7:8], v128 offset0:24 offset1:220
	ds_load_2addr_b32 v[9:10], v194 offset0:56 offset1:252
	ds_load_2addr_b32 v[24:25], v157 offset0:16 offset1:212
	s_waitcnt lgkmcnt(2)
	v_lshrrev_b32_e32 v2, 16, v8
	s_waitcnt lgkmcnt(1)
	v_lshrrev_b32_e32 v11, 16, v9
	;; [unrolled: 2-line block ×3, first 2 shown]
	s_waitcnt vmcnt(1)
	v_lshrrev_b32_e32 v225, 16, v53
	v_lshrrev_b32_e32 v227, 16, v54
	;; [unrolled: 1-line block ×3, first 2 shown]
	s_waitcnt vmcnt(0)
	v_lshrrev_b32_e32 v239, 16, v62
	v_lshrrev_b32_e32 v238, 16, v64
	v_mul_f16_e64 v3, v8, v225
	v_mul_f16_e64 v12, v9, v227
	v_mul_f16_e64 v14, v25, v226
	v_lshrrev_b32_e32 v240, 16, v63
	s_delay_alu instid0(VALU_DEP_4)
	v_fmac_f16_e32 v3, v2, v53
	v_mul_f16_e64 v2, v2, v225
	v_fmac_f16_e32 v12, v11, v54
	v_mul_f16_e64 v11, v11, v227
	;; [unrolled: 2-line block ×3, first 2 shown]
	v_fma_f16 v2, v8, v53, -v2
	s_delay_alu instid0(VALU_DEP_4) | instskip(SKIP_3) | instid1(VALU_DEP_2)
	v_fma_f16 v11, v9, v54, -v11
	ds_load_2addr_b32 v[8:9], v155 offset1:196
	v_fma_f16 v13, v25, v55, -v13
	v_sub_f16_e32 v14, v3, v14
	v_sub_f16_e32 v13, v2, v13
	s_delay_alu instid0(VALU_DEP_2) | instskip(NEXT) | instid1(VALU_DEP_2)
	v_fma_f16 v3, v3, 2.0, -v14
	v_fma_f16 v2, v2, 2.0, -v13
	s_waitcnt lgkmcnt(0)
	v_lshrrev_b32_e32 v15, 16, v8
	v_sub_f16_e32 v11, v8, v11
	s_delay_alu instid0(VALU_DEP_2) | instskip(NEXT) | instid1(VALU_DEP_2)
	v_sub_f16_e32 v12, v15, v12
	v_fma_f16 v8, v8, 2.0, -v11
	v_sub_f16_e32 v14, v11, v14
	s_delay_alu instid0(VALU_DEP_3) | instskip(SKIP_1) | instid1(VALU_DEP_4)
	v_fma_f16 v15, v15, 2.0, -v12
	v_add_f16_e32 v13, v12, v13
	v_sub_f16_e32 v2, v8, v2
	s_delay_alu instid0(VALU_DEP_4) | instskip(NEXT) | instid1(VALU_DEP_4)
	v_fma_f16 v11, v11, 2.0, -v14
	v_sub_f16_e32 v3, v15, v3
	s_delay_alu instid0(VALU_DEP_4) | instskip(NEXT) | instid1(VALU_DEP_4)
	v_fma_f16 v12, v12, 2.0, -v13
	v_fma_f16 v8, v8, 2.0, -v2
	s_delay_alu instid0(VALU_DEP_3) | instskip(NEXT) | instid1(VALU_DEP_3)
	v_fma_f16 v15, v15, 2.0, -v3
	v_pack_b32_f16 v11, v11, v12
	v_mul_lo_u16 v12, v1, 12
	v_pack_b32_f16 v2, v2, v3
	v_pack_b32_f16 v3, v14, v13
	;; [unrolled: 1-line block ×3, first 2 shown]
	v_mul_lo_u16 v15, v6, 12
	v_and_b32_e32 v12, 0xffff, v12
	v_and_b32_e32 v1, 0xffff, v1
	s_delay_alu instid0(VALU_DEP_3) | instskip(NEXT) | instid1(VALU_DEP_3)
	v_and_b32_e32 v15, 0xffff, v15
	v_add_co_u32 v25, s2, s6, v12
	v_mul_lo_u16 v12, v5, 12
	v_add_co_ci_u32_e64 v26, null, s7, 0, s2
	s_delay_alu instid0(VALU_DEP_4) | instskip(SKIP_1) | instid1(VALU_DEP_4)
	v_add_co_u32 v27, s2, s6, v15
	v_mul_lo_u16 v15, v4, 12
	v_and_b32_e32 v12, 0xffff, v12
	v_add_co_ci_u32_e64 v28, null, s7, 0, s2
	v_lshlrev_b32_e32 v1, 2, v1
	s_delay_alu instid0(VALU_DEP_4) | instskip(NEXT) | instid1(VALU_DEP_4)
	v_and_b32_e32 v15, 0xffff, v15
	v_add_co_u32 v29, s2, s6, v12
	s_delay_alu instid0(VALU_DEP_1) | instskip(NEXT) | instid1(VALU_DEP_3)
	v_add_co_ci_u32_e64 v30, null, s7, 0, s2
	v_add_co_u32 v56, s2, s6, v15
	s_delay_alu instid0(VALU_DEP_1)
	v_add_co_ci_u32_e64 v57, null, s7, 0, s2
	s_clause 0x3
	global_load_b96 v[68:70], v[25:26], off offset:756
	global_load_b96 v[65:67], v[27:28], off offset:756
	;; [unrolled: 1-line block ×4, first 2 shown]
	ds_load_2addr_b32 v[25:26], v162 offset0:32 offset1:228
	ds_load_2addr_b32 v[27:28], v134 offset0:24 offset1:220
	;; [unrolled: 1-line block ×3, first 2 shown]
	ds_load_2addr_b32 v[76:77], v159 offset1:196
	ds_load_2addr_b32 v[78:79], v127 offset0:40 offset1:236
	ds_load_2addr_b32 v[86:87], v151 offset0:32 offset1:228
	;; [unrolled: 1-line block ×6, first 2 shown]
	s_waitcnt vmcnt(0) lgkmcnt(0)
	s_barrier
	buffer_gl0_inv
	ds_store_2addr_b32 v155, v8, v11 offset1:196
	ds_store_2addr_b32 v124, v2, v3 offset0:8 offset1:204
	v_lshrrev_b32_e32 v2, 16, v10
	v_mul_f16_e64 v8, v10, v227
	v_and_b32_e32 v4, 0xffff, v4
	s_delay_alu instid0(VALU_DEP_3)
	v_mul_f16_e64 v3, v2, v227
	v_mul_f16_e64 v11, v25, v225
	v_lshrrev_b32_e32 v12, 16, v27
	v_mul_f16_e64 v13, v27, v226
	v_fmac_f16_e32 v8, v2, v54
	v_fma_f16 v3, v10, v54, -v3
	v_lshrrev_b32_e32 v10, 16, v25
	v_lshlrev_b32_e32 v4, 2, v4
	v_fmac_f16_e32 v13, v12, v55
	v_mul_f16_e64 v12, v12, v226
	v_sub_f16_e32 v2, v9, v3
	v_fmac_f16_e32 v11, v10, v53
	v_mul_f16_e64 v10, v10, v225
	v_lshrrev_b32_e32 v3, 16, v9
	v_fma_f16 v12, v27, v55, -v12
	v_fma_f16 v9, v9, 2.0, -v2
	v_sub_f16_e32 v13, v11, v13
	v_fma_f16 v10, v25, v53, -v10
	v_sub_f16_e32 v8, v3, v8
	s_delay_alu instid0(VALU_DEP_3) | instskip(NEXT) | instid1(VALU_DEP_3)
	v_fma_f16 v11, v11, 2.0, -v13
	v_sub_f16_e32 v12, v10, v12
	s_delay_alu instid0(VALU_DEP_3) | instskip(NEXT) | instid1(VALU_DEP_2)
	v_fma_f16 v3, v3, 2.0, -v8
	v_fma_f16 v10, v10, 2.0, -v12
	s_delay_alu instid0(VALU_DEP_2) | instskip(SKIP_1) | instid1(VALU_DEP_3)
	v_sub_f16_e32 v11, v3, v11
	v_add_f16_e32 v12, v8, v12
	v_sub_f16_e32 v10, v9, v10
	s_delay_alu instid0(VALU_DEP_3) | instskip(NEXT) | instid1(VALU_DEP_3)
	v_fma_f16 v3, v3, 2.0, -v11
	v_fma_f16 v8, v8, 2.0, -v12
	s_delay_alu instid0(VALU_DEP_3) | instskip(NEXT) | instid1(VALU_DEP_1)
	v_fma_f16 v9, v9, 2.0, -v10
	v_pack_b32_f16 v3, v9, v3
	v_sub_f16_e32 v9, v2, v13
	s_delay_alu instid0(VALU_DEP_1) | instskip(NEXT) | instid1(VALU_DEP_1)
	v_fma_f16 v2, v2, 2.0, -v9
	v_pack_b32_f16 v2, v2, v8
	v_mul_f16_e64 v8, v26, v239
	ds_store_2addr_b32 v161, v3, v2 offset0:16 offset1:212
	v_pack_b32_f16 v2, v10, v11
	v_pack_b32_f16 v3, v9, v12
	v_lshrrev_b32_e32 v9, 16, v28
	v_mul_f16_e64 v11, v28, v238
	v_lshrrev_b32_e32 v12, 16, v29
	ds_store_2addr_b32 v128, v2, v3 offset0:24 offset1:220
	v_lshrrev_b32_e32 v2, 16, v26
	v_mul_f16_e64 v10, v9, v238
	v_fmac_f16_e32 v11, v9, v64
	v_mul_f16_e64 v9, v76, v240
	s_delay_alu instid0(VALU_DEP_4) | instskip(SKIP_3) | instid1(VALU_DEP_4)
	v_mul_f16_e64 v3, v2, v239
	v_fmac_f16_e32 v8, v2, v62
	v_lshrrev_b32_e32 v2, 16, v76
	v_fma_f16 v10, v28, v64, -v10
	v_fma_f16 v3, v26, v62, -v3
	s_delay_alu instid0(VALU_DEP_4) | instskip(NEXT) | instid1(VALU_DEP_4)
	v_sub_f16_e32 v11, v8, v11
	v_fmac_f16_e32 v9, v2, v63
	v_mul_f16_e64 v2, v2, v240
	s_delay_alu instid0(VALU_DEP_4) | instskip(NEXT) | instid1(VALU_DEP_4)
	v_sub_f16_e32 v10, v3, v10
	v_fma_f16 v8, v8, 2.0, -v11
	s_delay_alu instid0(VALU_DEP_4) | instskip(NEXT) | instid1(VALU_DEP_4)
	v_sub_f16_e32 v9, v12, v9
	v_fma_f16 v2, v76, v63, -v2
	s_delay_alu instid0(VALU_DEP_4) | instskip(NEXT) | instid1(VALU_DEP_3)
	v_fma_f16 v3, v3, 2.0, -v10
	v_fma_f16 v12, v12, 2.0, -v9
	s_delay_alu instid0(VALU_DEP_3) | instskip(SKIP_1) | instid1(VALU_DEP_3)
	v_sub_f16_e32 v2, v29, v2
	v_add_f16_e32 v10, v9, v10
	v_sub_f16_e32 v8, v12, v8
	s_delay_alu instid0(VALU_DEP_3) | instskip(SKIP_1) | instid1(VALU_DEP_4)
	v_fma_f16 v13, v29, 2.0, -v2
	v_sub_f16_e32 v11, v2, v11
	v_fma_f16 v9, v9, 2.0, -v10
	s_delay_alu instid0(VALU_DEP_4) | instskip(NEXT) | instid1(VALU_DEP_4)
	v_fma_f16 v12, v12, 2.0, -v8
	v_sub_f16_e32 v3, v13, v3
	s_delay_alu instid0(VALU_DEP_4) | instskip(NEXT) | instid1(VALU_DEP_2)
	v_fma_f16 v2, v2, 2.0, -v11
	v_fma_f16 v13, v13, 2.0, -v3
	s_delay_alu instid0(VALU_DEP_2) | instskip(SKIP_2) | instid1(VALU_DEP_4)
	v_pack_b32_f16 v2, v2, v9
	v_add_nc_u32_e32 v9, 0x1800, v0
	v_add_nc_u32_e32 v0, 0x1e00, v0
	v_pack_b32_f16 v12, v13, v12
	s_clause 0x1
	scratch_store_b32 off, v9, off offset:192
	scratch_store_b32 off, v0, off offset:164
	ds_store_2addr_b32 v9, v12, v2 offset0:32 offset1:228
	v_pack_b32_f16 v2, v3, v8
	v_pack_b32_f16 v3, v11, v10
	v_lshrrev_b32_e32 v9, 16, v78
	v_lshrrev_b32_e32 v11, 16, v86
	ds_store_2addr_b32 v0, v2, v3 offset0:40 offset1:236
	v_lshrrev_b32_e32 v0, 16, v77
	v_lshrrev_b32_e32 v246, 16, v69
	;; [unrolled: 1-line block ×6, first 2 shown]
	v_mul_f16_e64 v2, v0, v246
	v_mul_f16_e64 v10, v78, v248
	;; [unrolled: 1-line block ×4, first 2 shown]
	v_lshrrev_b32_e32 v251, 16, v66
	v_fma_f16 v2, v77, v69, -v2
	v_fmac_f16_e32 v10, v9, v68
	v_mul_f16_e64 v9, v9, v248
	v_fmac_f16_e32 v12, v11, v70
	v_mul_f16_e64 v11, v11, v247
	v_fmac_f16_e32 v3, v0, v69
	v_sub_f16_e32 v0, v30, v2
	v_lshrrev_b32_e32 v2, 16, v30
	v_fma_f16 v9, v78, v68, -v9
	v_fma_f16 v11, v86, v70, -v11
	v_sub_f16_e32 v12, v10, v12
	v_fma_f16 v8, v30, 2.0, -v0
	v_sub_f16_e32 v3, v2, v3
	v_lshrrev_b32_e32 v253, 16, v60
	v_sub_f16_e32 v11, v9, v11
	v_fma_f16 v10, v10, 2.0, -v12
	v_lshrrev_b32_e32 v255, 16, v59
	v_fma_f16 v2, v2, 2.0, -v3
	v_lshrrev_b32_e32 v254, 16, v61
	v_fma_f16 v9, v9, 2.0, -v11
	v_add_f16_e32 v11, v3, v11
	v_lshrrev_b32_e32 v71, 16, v57
	v_sub_f16_e32 v10, v2, v10
	v_lshrrev_b32_e32 v110, 16, v56
	v_sub_f16_e32 v9, v8, v9
	v_fma_f16 v3, v3, 2.0, -v11
	s_delay_alu instid0(VALU_DEP_4) | instskip(NEXT) | instid1(VALU_DEP_3)
	v_fma_f16 v2, v2, 2.0, -v10
	v_fma_f16 v8, v8, 2.0, -v9
	s_delay_alu instid0(VALU_DEP_1) | instskip(SKIP_1) | instid1(VALU_DEP_1)
	v_pack_b32_f16 v2, v8, v2
	v_sub_f16_e32 v8, v0, v12
	v_fma_f16 v0, v0, 2.0, -v8
	s_delay_alu instid0(VALU_DEP_1)
	v_pack_b32_f16 v0, v0, v3
	v_add_nc_u32_e32 v3, 0x2400, v1
	v_add_nc_u32_e32 v1, 0x2a00, v1
	ds_store_2addr_b32 v3, v2, v0 offset0:48 offset1:244
	v_pack_b32_f16 v0, v9, v10
	v_pack_b32_f16 v2, v8, v11
	s_clause 0x1
	scratch_store_b32 off, v3, off offset:168
	scratch_store_b32 off, v1, off offset:172
	v_lshrrev_b32_e32 v3, 16, v87
	v_mul_f16_e64 v9, v87, v250
	ds_store_2addr_b32 v1, v0, v2 offset0:56 offset1:252
	v_lshrrev_b32_e32 v0, 16, v79
	v_mul_f16_e64 v2, v79, v252
	v_mul_f16_e64 v8, v3, v250
	v_fmac_f16_e32 v9, v3, v67
	v_mul_f16_e64 v3, v92, v251
	v_mul_f16_e64 v1, v0, v252
	v_fmac_f16_e32 v2, v0, v65
	v_lshrrev_b32_e32 v0, 16, v92
	v_fma_f16 v8, v87, v67, -v8
	v_lshrrev_b32_e32 v10, 16, v88
	v_fma_f16 v1, v79, v65, -v1
	v_sub_f16_e32 v9, v2, v9
	v_fmac_f16_e32 v3, v0, v66
	v_mul_f16_e64 v0, v0, v251
	s_delay_alu instid0(VALU_DEP_4) | instskip(NEXT) | instid1(VALU_DEP_4)
	v_sub_f16_e32 v8, v1, v8
	v_fma_f16 v2, v2, 2.0, -v9
	s_delay_alu instid0(VALU_DEP_4) | instskip(NEXT) | instid1(VALU_DEP_4)
	v_sub_f16_e32 v3, v10, v3
	v_fma_f16 v0, v92, v66, -v0
	s_delay_alu instid0(VALU_DEP_4) | instskip(NEXT) | instid1(VALU_DEP_3)
	v_fma_f16 v1, v1, 2.0, -v8
	v_add_f16_e32 v8, v3, v8
	s_delay_alu instid0(VALU_DEP_3) | instskip(SKIP_1) | instid1(VALU_DEP_3)
	v_sub_f16_e32 v0, v88, v0
	v_fma_f16 v10, v10, 2.0, -v3
	v_fma_f16 v3, v3, 2.0, -v8
	s_delay_alu instid0(VALU_DEP_3) | instskip(SKIP_1) | instid1(VALU_DEP_4)
	v_sub_f16_e32 v9, v0, v9
	v_fma_f16 v11, v88, 2.0, -v0
	v_sub_f16_e32 v2, v10, v2
	s_delay_alu instid0(VALU_DEP_3) | instskip(NEXT) | instid1(VALU_DEP_3)
	v_fma_f16 v0, v0, 2.0, -v9
	v_sub_f16_e32 v1, v11, v1
	s_delay_alu instid0(VALU_DEP_3) | instskip(NEXT) | instid1(VALU_DEP_3)
	v_fma_f16 v10, v10, 2.0, -v2
	v_pack_b32_f16 v0, v0, v3
	v_and_b32_e32 v3, 0xffff, v6
	s_delay_alu instid0(VALU_DEP_4) | instskip(NEXT) | instid1(VALU_DEP_2)
	v_fma_f16 v11, v11, 2.0, -v1
	v_lshlrev_b32_e32 v3, 2, v3
	s_delay_alu instid0(VALU_DEP_2) | instskip(NEXT) | instid1(VALU_DEP_2)
	v_pack_b32_f16 v10, v11, v10
	v_add_nc_u32_e32 v6, 0x3100, v3
	ds_store_2addr_b32 v6, v10, v0 offset1:196
	v_pack_b32_f16 v0, v1, v2
	v_pack_b32_f16 v1, v9, v8
	v_add_nc_u32_e32 v2, 0x3700, v3
	scratch_store_b32 off, v6, off offset:180 ; 4-byte Folded Spill
	v_lshrrev_b32_e32 v6, 16, v94
	v_mul_f16_e64 v8, v94, v255
	v_lshrrev_b32_e32 v9, 16, v98
	scratch_store_b32 off, v2, off offset:176 ; 4-byte Folded Spill
	ds_store_2addr_b32 v2, v0, v1 offset0:8 offset1:204
	v_lshrrev_b32_e32 v0, 16, v93
	v_mul_f16_e64 v10, v98, v254
	v_mul_f16_e64 v2, v93, v253
	v_fmac_f16_e32 v8, v6, v59
	v_mul_f16_e64 v6, v6, v255
	v_mul_f16_e64 v1, v0, v253
	v_fmac_f16_e32 v10, v9, v61
	v_mul_f16_e64 v9, v9, v254
	v_fmac_f16_e32 v2, v0, v60
	v_fma_f16 v6, v94, v59, -v6
	v_fma_f16 v1, v93, v60, -v1
	v_sub_f16_e32 v10, v8, v10
	v_fma_f16 v9, v98, v61, -v9
	v_lshrrev_b32_e32 v98, 16, v58
	s_delay_alu instid0(VALU_DEP_4) | instskip(SKIP_1) | instid1(VALU_DEP_4)
	v_sub_f16_e32 v0, v89, v1
	v_lshrrev_b32_e32 v1, 16, v89
	v_sub_f16_e32 v9, v6, v9
	v_fma_f16 v8, v8, 2.0, -v10
	s_delay_alu instid0(VALU_DEP_4) | instskip(NEXT) | instid1(VALU_DEP_4)
	v_fma_f16 v3, v89, 2.0, -v0
	v_sub_f16_e32 v2, v1, v2
	s_delay_alu instid0(VALU_DEP_4) | instskip(NEXT) | instid1(VALU_DEP_2)
	v_fma_f16 v6, v6, 2.0, -v9
	v_fma_f16 v1, v1, 2.0, -v2
	s_delay_alu instid0(VALU_DEP_2) | instskip(SKIP_1) | instid1(VALU_DEP_3)
	v_sub_f16_e32 v6, v3, v6
	v_add_f16_e32 v9, v2, v9
	v_sub_f16_e32 v8, v1, v8
	s_delay_alu instid0(VALU_DEP_3) | instskip(NEXT) | instid1(VALU_DEP_3)
	v_fma_f16 v3, v3, 2.0, -v6
	v_fma_f16 v2, v2, 2.0, -v9
	s_delay_alu instid0(VALU_DEP_3) | instskip(NEXT) | instid1(VALU_DEP_1)
	v_fma_f16 v1, v1, 2.0, -v8
	v_pack_b32_f16 v1, v3, v1
	v_sub_f16_e32 v3, v0, v10
	v_mul_f16_e32 v10, v99, v98
	s_delay_alu instid0(VALU_DEP_2) | instskip(NEXT) | instid1(VALU_DEP_1)
	v_fma_f16 v0, v0, 2.0, -v3
	v_pack_b32_f16 v0, v0, v2
	v_and_b32_e32 v2, 0xffff, v5
	s_delay_alu instid0(VALU_DEP_1) | instskip(NEXT) | instid1(VALU_DEP_1)
	v_lshlrev_b32_e32 v2, 2, v2
	v_add_nc_u32_e32 v5, 0x3d00, v2
	v_add_nc_u32_e32 v2, 0x4300, v2
	ds_store_2addr_b32 v5, v1, v0 offset0:16 offset1:212
	v_pack_b32_f16 v0, v6, v8
	v_pack_b32_f16 v1, v3, v9
	v_lshrrev_b32_e32 v3, 16, v24
	s_clause 0x1
	scratch_store_b32 off, v5, off offset:184
	scratch_store_b32 off, v2, off offset:188
	v_lshrrev_b32_e32 v8, 16, v99
	ds_store_2addr_b32 v2, v0, v1 offset0:24 offset1:220
	v_lshrrev_b32_e32 v0, 16, v95
	v_mul_f16_e32 v5, v3, v71
	v_mul_f16_e32 v2, v95, v110
	;; [unrolled: 1-line block ×5, first 2 shown]
	v_fma_f16 v5, v24, v57, -v5
	v_fmac_f16_e32 v2, v0, v56
	v_fmac_f16_e32 v6, v3, v57
	v_fma_f16 v9, v99, v58, -v9
	v_fma_f16 v1, v95, v56, -v1
	v_fmac_f16_e32 v10, v8, v58
	v_sub_f16_e32 v0, v7, v5
	v_lshrrev_b32_e32 v3, 16, v7
	s_delay_alu instid0(VALU_DEP_3) | instskip(NEXT) | instid1(VALU_DEP_3)
	v_sub_f16_e32 v8, v2, v10
	v_fma_f16 v5, v7, 2.0, -v0
	s_delay_alu instid0(VALU_DEP_3) | instskip(SKIP_1) | instid1(VALU_DEP_4)
	v_sub_f16_e32 v6, v3, v6
	v_sub_f16_e32 v7, v1, v9
	v_fma_f16 v2, v2, 2.0, -v8
	s_delay_alu instid0(VALU_DEP_3) | instskip(NEXT) | instid1(VALU_DEP_3)
	v_fma_f16 v3, v3, 2.0, -v6
	v_fma_f16 v1, v1, 2.0, -v7
	v_add_f16_e32 v7, v6, v7
	s_delay_alu instid0(VALU_DEP_3) | instskip(NEXT) | instid1(VALU_DEP_3)
	v_sub_f16_e32 v2, v3, v2
	v_sub_f16_e32 v1, v5, v1
	s_delay_alu instid0(VALU_DEP_3) | instskip(NEXT) | instid1(VALU_DEP_3)
	v_fma_f16 v6, v6, 2.0, -v7
	v_fma_f16 v3, v3, 2.0, -v2
	s_delay_alu instid0(VALU_DEP_3) | instskip(NEXT) | instid1(VALU_DEP_1)
	v_fma_f16 v5, v5, 2.0, -v1
	v_pack_b32_f16 v3, v5, v3
	v_sub_f16_e32 v5, v0, v8
	s_delay_alu instid0(VALU_DEP_1) | instskip(NEXT) | instid1(VALU_DEP_1)
	v_fma_f16 v0, v0, 2.0, -v5
	v_pack_b32_f16 v0, v0, v6
	v_add_nc_u32_e32 v6, 0x4900, v4
	ds_store_2addr_b32 v6, v3, v0 offset0:32 offset1:228
	v_pack_b32_f16 v0, v1, v2
	v_pack_b32_f16 v1, v5, v7
	v_add_nc_u32_e32 v2, 0x4f00, v4
	v_mad_u64_u32 v[4:5], null, v145, 24, s[6:7]
	scratch_store_b32 off, v6, off offset:196 ; 4-byte Folded Spill
	s_mov_b32 s6, 0x515a4f1d
	scratch_store_b32 off, v2, off offset:200 ; 4-byte Folded Spill
	ds_store_2addr_b32 v2, v0, v1 offset0:40 offset1:236
	s_waitcnt lgkmcnt(0)
	s_waitcnt_vscnt null, 0x0
	s_barrier
	v_add_co_u32 v6, vcc_lo, 0x1260, v4
	v_add_co_ci_u32_e32 v7, vcc_lo, 0, v5, vcc_lo
	buffer_gl0_inv
	ds_load_2addr_b32 v[30:31], v161 offset0:16 offset1:212
	s_clause 0x3
	global_load_b64 v[78:79], v[4:5], off offset:3124
	global_load_b128 v[218:221], v[4:5], off offset:3108
	global_load_b64 v[76:77], v[6:7], off offset:3124
	global_load_b128 v[228:231], v[6:7], off offset:3108
	ds_load_2addr_b32 v[86:87], v160 offset0:48 offset1:244
	v_add_co_u32 v24, vcc_lo, 0x24c0, v4
	v_add_co_ci_u32_e32 v25, vcc_lo, 0, v5, vcc_lo
	v_add_co_u32 v28, vcc_lo, 0x3720, v4
	ds_load_2addr_b32 v[88:89], v159 offset1:196
	v_add_co_ci_u32_e32 v29, vcc_lo, 0, v5, vcc_lo
	s_mov_b32 s7, 0x3f27e225
	s_waitcnt lgkmcnt(2)
	v_lshrrev_b32_e32 v0, 16, v30
	v_lshrrev_b32_e32 v2, 16, v31
	s_waitcnt lgkmcnt(1)
	v_lshrrev_b32_e32 v7, 16, v87
	s_waitcnt lgkmcnt(0)
	v_lshrrev_b32_e32 v10, 16, v89
	s_waitcnt vmcnt(3)
	v_lshrrev_b32_e32 v48, 16, v78
	s_waitcnt vmcnt(2)
	;; [unrolled: 2-line block ×3, first 2 shown]
	v_lshrrev_b32_e32 v104, 16, v228
	v_lshrrev_b32_e32 v233, 16, v219
	v_lshrrev_b32_e32 v108, 16, v229
	v_lshrrev_b32_e32 v234, 16, v220
	v_mul_f16_e64 v1, v0, v232
	v_mul_f16_e32 v3, v2, v104
	v_mul_f16_e32 v27, v31, v104
	v_lshrrev_b32_e32 v103, 16, v230
	v_mul_f16_e64 v6, v86, v234
	v_fma_f16 v1, v30, v218, -v1
	v_fma_f16 v26, v31, v228, -v3
	v_mul_f16_e64 v3, v30, v232
	ds_load_2addr_b32 v[30:31], v162 offset0:32 offset1:228
	v_fmac_f16_e64 v27, v2, v228
	v_mul_f16_e32 v8, v7, v103
	v_lshrrev_b32_e32 v235, 16, v221
	v_fmac_f16_e64 v3, v0, v218
	v_lshrrev_b32_e32 v107, 16, v231
	v_lshrrev_b32_e32 v49, 16, v76
	v_lshrrev_b32_e32 v224, 16, v79
	v_mul_f16_e64 v9, v88, v235
	v_lshrrev_b32_e32 v106, 16, v77
	v_mul_f16_e32 v11, v10, v107
	v_mul_f16_e32 v12, v89, v107
	s_delay_alu instid0(VALU_DEP_2) | instskip(NEXT) | instid1(VALU_DEP_2)
	v_fma_f16 v11, v89, v231, -v11
	v_fmac_f16_e64 v12, v10, v231
	s_waitcnt lgkmcnt(0)
	v_lshrrev_b32_e32 v0, 16, v30
	v_mul_f16_e64 v2, v30, v233
	v_lshrrev_b32_e32 v4, 16, v31
	s_delay_alu instid0(VALU_DEP_2) | instskip(SKIP_1) | instid1(VALU_DEP_3)
	v_fmac_f16_e64 v2, v0, v219
	v_mul_f16_e64 v0, v0, v233
	v_mul_f16_e32 v5, v4, v108
	s_delay_alu instid0(VALU_DEP_2) | instskip(NEXT) | instid1(VALU_DEP_2)
	v_fma_f16 v0, v30, v219, -v0
	v_fma_f16 v30, v31, v229, -v5
	v_lshrrev_b32_e32 v5, 16, v86
	v_mul_f16_e32 v31, v31, v108
	s_delay_alu instid0(VALU_DEP_2) | instskip(SKIP_1) | instid1(VALU_DEP_3)
	v_fmac_f16_e64 v6, v5, v220
	v_mul_f16_e64 v5, v5, v234
	v_fmac_f16_e64 v31, v4, v229
	s_delay_alu instid0(VALU_DEP_2) | instskip(SKIP_3) | instid1(VALU_DEP_2)
	v_fma_f16 v5, v86, v220, -v5
	v_fma_f16 v86, v87, v230, -v8
	v_lshrrev_b32_e32 v8, 16, v88
	v_mul_f16_e32 v87, v87, v103
	v_fmac_f16_e64 v9, v8, v221
	v_mul_f16_e64 v8, v8, v235
	s_delay_alu instid0(VALU_DEP_3) | instskip(NEXT) | instid1(VALU_DEP_2)
	v_fmac_f16_e64 v87, v7, v230
	v_fma_f16 v8, v88, v221, -v8
	ds_load_2addr_b32 v[88:89], v157 offset0:16 offset1:212
	s_waitcnt lgkmcnt(0)
	v_lshrrev_b32_e32 v13, 16, v88
	v_mul_f16_e32 v14, v88, v48
	v_lshrrev_b32_e32 v15, 16, v89
	v_mul_f16_e32 v17, v89, v49
	s_delay_alu instid0(VALU_DEP_3) | instskip(SKIP_1) | instid1(VALU_DEP_4)
	v_fmac_f16_e32 v14, v13, v78
	v_mul_f16_e32 v13, v13, v48
	v_mul_f16_e32 v16, v15, v49
	s_delay_alu instid0(VALU_DEP_4) | instskip(NEXT) | instid1(VALU_DEP_3)
	v_fmac_f16_e32 v17, v15, v76
	v_fma_f16 v13, v88, v78, -v13
	s_delay_alu instid0(VALU_DEP_3)
	v_fma_f16 v16, v89, v76, -v16
	ds_load_2addr_b32 v[88:89], v151 offset0:32 offset1:228
	v_add_f16_e32 v10, v0, v13
	v_sub_f16_e32 v0, v0, v13
	v_add_f16_e32 v13, v2, v14
	v_sub_f16_e32 v2, v2, v14
	;; [unrolled: 2-line block ×4, first 2 shown]
	s_waitcnt lgkmcnt(0)
	v_lshrrev_b32_e32 v18, 16, v88
	v_mul_f16_e64 v19, v88, v224
	v_mul_f16_e32 v99, v89, v106
	s_delay_alu instid0(VALU_DEP_2) | instskip(SKIP_1) | instid1(VALU_DEP_2)
	v_fmac_f16_e32 v19, v18, v79
	v_mul_f16_e64 v18, v18, v224
	v_add_f16_e32 v7, v3, v19
	s_delay_alu instid0(VALU_DEP_2) | instskip(SKIP_3) | instid1(VALU_DEP_4)
	v_fma_f16 v18, v88, v79, -v18
	v_lshrrev_b32_e32 v88, 16, v89
	v_sub_f16_e32 v3, v3, v19
	v_sub_f16_e32 v19, v5, v0
	v_add_f16_e32 v4, v1, v18
	v_sub_f16_e32 v1, v1, v18
	v_sub_f16_e32 v18, v13, v7
	v_mul_f16_e32 v92, v88, v106
	v_fmac_f16_e32 v99, v88, v77
	v_add_f16_e32 v9, v10, v4
	v_sub_f16_e32 v15, v10, v4
	v_sub_f16_e32 v4, v4, v14
	;; [unrolled: 1-line block ×4, first 2 shown]
	v_add_f16_e32 v9, v14, v9
	v_add_f16_e32 v14, v13, v7
	v_sub_f16_e32 v7, v7, v8
	v_sub_f16_e32 v13, v8, v13
	v_mul_f16_e32 v4, 0x3a52, v4
	v_fma_f16 v96, v89, v77, -v92
	v_add_f16_e32 v8, v8, v14
	v_add_f16_e32 v14, v5, v0
	v_sub_f16_e32 v5, v1, v5
	v_sub_f16_e32 v0, v0, v1
	v_mul_f16_e32 v7, 0x3a52, v7
	s_delay_alu instid0(VALU_DEP_4) | instskip(SKIP_3) | instid1(VALU_DEP_3)
	v_add_f16_e32 v1, v14, v1
	v_add_f16_e32 v14, v6, v2
	v_sub_f16_e32 v6, v3, v6
	v_sub_f16_e32 v2, v2, v3
	v_add_f16_e32 v3, v14, v3
	v_mul_f16_e32 v14, 0x2b26, v10
	v_fmamk_f16 v10, v10, 0x2b26, v4
	v_fma_f16 v4, v15, 0xb9e0, -v4
	v_mul_f16_e32 v92, 0xbb00, v2
	s_delay_alu instid0(VALU_DEP_4) | instskip(SKIP_4) | instid1(VALU_DEP_4)
	v_fma_f16 v14, v15, 0x39e0, -v14
	v_mul_f16_e32 v15, 0x2b26, v13
	v_fmamk_f16 v13, v13, 0x2b26, v7
	v_fma_f16 v7, v18, 0xb9e0, -v7
	v_fmac_f16_e32 v92, 0xb574, v6
	v_fma_f16 v15, v18, 0x39e0, -v15
	v_mul_f16_e32 v18, 0xb846, v19
	v_mul_f16_e32 v19, 0xbb00, v0
	s_delay_alu instid0(VALU_DEP_4) | instskip(NEXT) | instid1(VALU_DEP_3)
	v_fmac_f16_e32 v92, 0x370e, v3
	v_fma_f16 v0, v0, 0x3b00, -v18
	v_fmamk_f16 v18, v5, 0x3574, v18
	s_delay_alu instid0(VALU_DEP_4)
	v_fmac_f16_e32 v19, 0xb574, v5
	v_mul_f16_e32 v5, 0xb846, v88
	ds_load_2addr_b32 v[88:89], v155 offset1:196
	v_fmac_f16_e32 v0, 0x370e, v1
	v_fmac_f16_e32 v18, 0x370e, v1
	;; [unrolled: 1-line block ×3, first 2 shown]
	v_fma_f16 v2, v2, 0x3b00, -v5
	v_fmamk_f16 v5, v6, 0x3574, v5
	s_delay_alu instid0(VALU_DEP_2) | instskip(NEXT) | instid1(VALU_DEP_2)
	v_fmac_f16_e32 v2, 0x370e, v3
	v_fmac_f16_e32 v5, 0x370e, v3
	s_waitcnt lgkmcnt(0)
	v_add_f16_e32 v6, v88, v9
	s_delay_alu instid0(VALU_DEP_1) | instskip(NEXT) | instid1(VALU_DEP_1)
	v_fmamk_f16 v9, v9, 0xbcab, v6
	v_add_f16_e32 v10, v10, v9
	v_add_f16_e32 v14, v14, v9
	;; [unrolled: 1-line block ×3, first 2 shown]
	v_lshrrev_b32_e32 v9, 16, v88
	v_add_f16_e32 v88, v86, v11
	v_sub_f16_e32 v11, v11, v86
	v_sub_f16_e32 v1, v14, v2
	v_add_f16_e32 v2, v2, v14
	v_add_f16_e32 v9, v9, v8
	s_delay_alu instid0(VALU_DEP_1) | instskip(SKIP_1) | instid1(VALU_DEP_2)
	v_fmamk_f16 v8, v8, 0xbcab, v9
	v_pack_b32_f16 v9, v6, v9
	v_add_f16_e32 v13, v13, v8
	v_add_f16_e32 v15, v15, v8
	v_add_f16_e32 v7, v7, v8
	v_add_f16_e32 v8, v92, v4
	v_sub_f16_e32 v4, v4, v92
	s_delay_alu instid0(VALU_DEP_4)
	v_add_f16_e32 v3, v0, v15
	v_sub_f16_e32 v0, v15, v0
	v_add_f16_e32 v15, v5, v10
	v_sub_f16_e32 v5, v10, v5
	v_sub_f16_e32 v10, v13, v18
	v_sub_f16_e32 v14, v7, v19
	v_add_f16_e32 v7, v19, v7
	v_add_f16_e32 v13, v18, v13
	v_pack_b32_f16 v1, v1, v3
	v_pack_b32_f16 v6, v15, v10
	;; [unrolled: 1-line block ×5, first 2 shown]
	v_add_f16_e32 v18, v26, v96
	v_add_f16_e32 v19, v30, v16
	v_pack_b32_f16 v3, v5, v13
	ds_store_b32 v155, v6 offset:3136
	ds_store_b32 v155, v8 offset:6272
	;; [unrolled: 1-line block ×6, first 2 shown]
	v_add_f16_e32 v8, v27, v99
	v_add_f16_e32 v10, v31, v17
	;; [unrolled: 1-line block ×4, first 2 shown]
	v_sub_f16_e32 v12, v12, v87
	v_sub_f16_e32 v16, v30, v16
	v_add_f16_e32 v0, v10, v8
	v_add_f16_e32 v105, v88, v92
	v_lshrrev_b32_e32 v92, 16, v89
	v_sub_f16_e32 v17, v31, v17
	v_sub_f16_e32 v120, v11, v16
	v_add_f16_e32 v14, v13, v0
	v_add_f16_e32 v89, v89, v105
	;; [unrolled: 1-line block ×3, first 2 shown]
	v_sub_f16_e64 v182, v12, v17
	v_add_f16_e32 v121, v12, v17
	v_add_f16_e32 v15, v92, v14
	ds_load_2addr_b32 v[215:216], v124 offset0:8 offset1:204
	ds_load_2addr_b32 v[92:93], v128 offset0:24 offset1:220
	;; [unrolled: 1-line block ×7, first 2 shown]
	v_fmamk_f16 v30, v105, 0xbcab, v89
	v_mul_f16_e32 v120, 0xb846, v120
	v_mul_f16_e64 v182, 0xb846, v182
	v_pack_b32_f16 v113, v89, v15
	v_fmamk_f16 v14, v14, 0xbcab, v15
	ds_store_2addr_b32 v155, v9, v113 offset1:196
	v_sub_f16_e32 v9, v26, v96
	v_sub_f16_e32 v96, v27, v99
	s_clause 0x1
	global_load_b64 v[86:87], v[24:25], off offset:3124
	global_load_b128 v[24:27], v[24:25], off offset:3108
	s_waitcnt lgkmcnt(7)
	v_lshrrev_b32_e32 v168, 16, v215
	s_waitcnt lgkmcnt(6)
	v_lshrrev_b32_e32 v15, 16, v92
	v_sub_f16_e32 v11, v9, v11
	v_sub_f16_e32 v12, v96, v12
	s_waitcnt lgkmcnt(3)
	v_lshrrev_b32_e32 v125, 16, v2
	s_waitcnt lgkmcnt(2)
	v_lshrrev_b32_e32 v105, 16, v4
	;; [unrolled: 2-line block ×3, first 2 shown]
	v_add_f16_e32 v119, v119, v9
	v_add_f16_e32 v121, v121, v96
	v_fma_f16 v122, 0x3574, v12, v182
	v_fma_f16 v183, 0x3574, v11, v120
	v_sub_f16_e32 v9, v16, v9
	v_sub_f16_e32 v16, v19, v18
	s_delay_alu instid0(VALU_DEP_4) | instskip(NEXT) | instid1(VALU_DEP_4)
	v_fmac_f16_e32 v122, 0x370e, v121
	v_fmac_f16_e64 v183, 0x370e, v119
	s_waitcnt vmcnt(1)
	v_lshrrev_b32_e32 v166, 16, v87
	s_waitcnt vmcnt(0)
	v_lshrrev_b32_e32 v214, 16, v24
	v_lshrrev_b32_e32 v113, 16, v25
	;; [unrolled: 1-line block ×3, first 2 shown]
	v_mul_f16_e64 v99, v6, v166
	s_delay_alu instid0(VALU_DEP_4) | instskip(NEXT) | instid1(VALU_DEP_3)
	v_mul_f16_e64 v31, v92, v214
	v_mul_f16_e64 v222, v4, v213
	s_delay_alu instid0(VALU_DEP_3) | instskip(NEXT) | instid1(VALU_DEP_3)
	v_fmac_f16_e32 v99, v89, v87
	v_fmac_f16_e32 v31, v15, v24
	v_mul_f16_e64 v15, v15, v214
	v_mul_f16_e64 v89, v89, v166
	v_fmac_f16_e64 v222, v105, v86
	v_mul_f16_e64 v105, v105, v213
	s_delay_alu instid0(VALU_DEP_4) | instskip(NEXT) | instid1(VALU_DEP_4)
	v_fma_f16 v15, v92, v24, -v15
	v_fma_f16 v6, v6, v87, -v89
	v_lshrrev_b32_e32 v92, 16, v94
	s_delay_alu instid0(VALU_DEP_4) | instskip(SKIP_1) | instid1(VALU_DEP_4)
	v_fma_f16 v4, v4, v86, -v105
	v_lshrrev_b32_e32 v105, 16, v0
	v_add_f16_e32 v89, v15, v6
	v_sub_f16_e32 v6, v15, v6
	v_add_f16_e32 v15, v31, v99
	v_sub_f16_e32 v31, v31, v99
	v_mul_f16_e32 v99, v94, v113
	s_delay_alu instid0(VALU_DEP_1) | instskip(SKIP_1) | instid1(VALU_DEP_1)
	v_fmac_f16_e32 v99, v92, v25
	v_mul_f16_e32 v92, v92, v113
	v_fma_f16 v92, v94, v25, -v92
	s_delay_alu instid0(VALU_DEP_1) | instskip(SKIP_4) | instid1(VALU_DEP_3)
	v_add_f16_e32 v94, v92, v4
	v_sub_f16_e32 v4, v92, v4
	v_add_f16_e64 v92, v99, v222
	v_sub_f16_e64 v99, v99, v222
	v_lshrrev_b32_e32 v222, 16, v26
	v_add_f16_e64 v177, v92, v15
	s_delay_alu instid0(VALU_DEP_2) | instskip(SKIP_1) | instid1(VALU_DEP_2)
	v_mul_f16_e64 v114, v0, v222
	v_mul_f16_e64 v176, v105, v222
	v_fmac_f16_e32 v114, v105, v26
	v_lshrrev_b32_e32 v105, 16, v27
	s_delay_alu instid0(VALU_DEP_3)
	v_fma_f16 v0, v0, v26, -v176
	v_sub_f16_e64 v176, v8, v13
	v_sub_f16_e32 v13, v13, v10
	v_sub_f16_e32 v8, v10, v8
	v_mul_f16_e64 v129, v2, v105
	v_sub_f16_e32 v10, v17, v96
	v_mul_f16_e64 v176, 0x3a52, v176
	v_mul_f16_e32 v17, 0xbb00, v9
	v_fma_f16 v9, v9, 0x3b00, -v120
	v_fmac_f16_e64 v129, v125, v27
	v_mul_f16_e32 v125, v125, v105
	v_fma_f16 v217, 0x2b26, v13, v176
	v_fmac_f16_e32 v17, 0xb574, v11
	v_mul_f16_e32 v13, 0x2b26, v13
	v_sub_f16_e32 v11, v94, v89
	v_fma_f16 v2, v2, v27, -v125
	v_add_f16_e64 v217, v217, v14
	v_fmac_f16_e32 v17, 0x370e, v119
	v_fmac_f16_e32 v9, 0x370e, v119
	s_delay_alu instid0(VALU_DEP_4)
	v_add_f16_e32 v125, v0, v2
	v_sub_f16_e32 v0, v2, v0
	v_add_f16_e64 v2, v114, v129
	v_sub_f16_e64 v114, v129, v114
	v_sub_f16_e64 v129, v18, v88
	v_sub_f16_e32 v88, v88, v19
	v_sub_f16_e64 v210, v217, v183
	v_add_f16_e64 v187, v0, v4
	v_sub_f16_e64 v188, v0, v4
	v_mul_f16_e64 v129, 0x3a52, v129
	v_sub_f16_e32 v0, v6, v0
	v_add_f16_e64 v153, v114, v99
	v_add_f16_e64 v187, v187, v6
	v_sub_f16_e32 v4, v4, v6
	v_fma_f16 v223, 0x2b26, v88, v129
	v_mul_f16_e32 v6, 0xbb00, v10
	v_sub_f16_e64 v133, v89, v125
	v_add_f16_e64 v177, v2, v177
	v_sub_f16_e64 v186, v15, v2
	v_add_f16_e64 v223, v223, v30
	v_sub_f16_e64 v189, v114, v99
	v_sub_f16_e32 v114, v31, v114
	v_add_f16_e64 v153, v153, v31
	v_fmac_f16_e32 v6, 0xb574, v12
	v_add_f16_e64 v132, v122, v223
	v_sub_f16_e32 v12, v92, v15
	v_sub_f16_e32 v15, v99, v31
	v_fma_f16 v19, v16, 0xb9e0, -v129
	v_fma_f16 v31, v8, 0xb9e0, -v176
	v_pack_b32_f16 v132, v132, v210
	v_add_f16_e64 v210, v94, v89
	v_sub_f16_e32 v2, v2, v92
	v_add_f16_e64 v168, v168, v177
	v_mul_f16_e64 v133, 0x3a52, v133
	v_mul_f16_e64 v186, 0x3a52, v186
	v_add_f16_e64 v210, v125, v210
	v_sub_f16_e32 v125, v125, v94
	v_mul_f16_e64 v188, 0xb846, v188
	v_mul_f16_e64 v189, 0xb846, v189
	v_add_f16_e32 v19, v19, v30
	v_add_f16_e64 v215, v215, v210
	v_add_f16_e32 v31, v31, v14
	v_fmac_f16_e32 v6, 0x370e, v121
	v_fma_f16 v8, v8, 0x39e0, -v13
	v_fma_f16 v177, 0xbcab, v177, v168
	v_fma_f16 v210, 0xbcab, v210, v215
	;; [unrolled: 1-line block ×6, first 2 shown]
	v_add_f16_e32 v89, v6, v19
	v_sub_f16_e32 v92, v31, v17
	v_mul_f16_e32 v88, 0x2b26, v88
	v_add_f16_e32 v8, v8, v14
	v_mul_f16_e32 v14, 0x2b26, v125
	v_mul_f16_e32 v2, 0x2b26, v2
	v_add_f16_e64 v158, v158, v210
	v_add_f16_e64 v156, v156, v177
	v_fmac_f16_e64 v190, 0x370e, v153
	v_fmac_f16_e64 v191, 0x370e, v187
	v_mul_f16_e32 v18, 0xbb00, v4
	v_pack_b32_f16 v89, v89, v92
	v_fma_f16 v92, v11, 0xb9e0, -v133
	v_fma_f16 v94, v12, 0xb9e0, -v186
	;; [unrolled: 1-line block ×8, first 2 shown]
	v_add_f16_e64 v192, v190, v158
	v_sub_f16_e64 v184, v156, v191
	v_fmac_f16_e32 v18, 0xb574, v0
	v_mul_f16_e32 v0, 0xbb00, v15
	v_add_f16_e32 v13, v16, v30
	v_fmac_f16_e32 v10, 0x370e, v121
	v_add_f16_e64 v11, v11, v210
	v_add_f16_e64 v2, v2, v177
	v_fmac_f16_e64 v4, 0x370e, v187
	v_fmac_f16_e64 v12, 0x370e, v153
	v_pack_b32_f16 v184, v192, v184
	v_add_nc_u32_e32 v192, 0xf00, v155
	v_fmac_f16_e32 v0, 0xb574, v114
	v_sub_f16_e32 v14, v13, v10
	v_add_f16_e32 v15, v9, v8
	v_add_f16_e32 v16, v4, v2
	;; [unrolled: 1-line block ×3, first 2 shown]
	v_sub_f16_e32 v8, v8, v9
	v_add_f16_e32 v9, v12, v11
	v_sub_f16_e32 v2, v2, v4
	ds_store_2addr_b32 v192, v132, v184 offset0:20 offset1:216
	v_add_f16_e64 v92, v92, v210
	v_add_f16_e64 v94, v94, v177
	v_fmac_f16_e64 v0, 0x370e, v153
	v_fmac_f16_e64 v18, 0x370e, v187
	v_pack_b32_f16 v4, v10, v8
	v_pack_b32_f16 v2, v9, v2
	v_add_nc_u32_e32 v184, 0x3400, v155
	v_add_f16_e32 v96, v0, v92
	v_sub_f16_e32 v0, v92, v0
	v_add_nc_u32_e32 v187, 0x4000, v155
	v_sub_f16_e32 v99, v94, v18
	ds_store_2addr_b32 v184, v4, v2 offset0:4 offset1:200
	v_sub_f16_e32 v2, v19, v6
	v_add_f16_e32 v4, v17, v31
	v_add_f16_e32 v6, v18, v94
	v_pack_b32_f16 v14, v14, v15
	v_sub_f16_e32 v15, v11, v12
	v_pack_b32_f16 v96, v96, v99
	v_pack_b32_f16 v2, v2, v4
	;; [unrolled: 1-line block ×3, first 2 shown]
	v_sub_f16_e64 v4, v158, v190
	v_add_f16_e64 v6, v191, v156
	v_add_nc_u32_e32 v186, 0x1b00, v155
	v_pack_b32_f16 v15, v15, v16
	ds_store_2addr_b32 v187, v2, v0 offset0:20 offset1:216
	v_sub_f16_e64 v0, v223, v122
	v_add_f16_e64 v2, v183, v217
	v_add_nc_u32_e32 v129, 0x2700, v155
	v_add_nc_u32_e32 v189, 0x4c00, v155
	ds_store_2addr_b32 v186, v89, v96 offset0:36 offset1:232
	v_lshrrev_b32_e32 v13, 16, v5
	v_pack_b32_f16 v0, v0, v2
	v_pack_b32_f16 v2, v4, v6
	ds_store_2addr_b32 v129, v14, v15 offset0:52 offset1:248
	v_lshrrev_b32_e32 v15, 16, v7
	v_lshrrev_b32_e32 v9, 16, v1
	;; [unrolled: 1-line block ×3, first 2 shown]
	ds_store_2addr_b32 v189, v0, v2 offset0:36 offset1:232
	s_clause 0x1
	global_load_b64 v[88:89], v[28:29], off offset:3124
	global_load_b128 v[28:31], v[28:29], off offset:3108
	v_lshrrev_b32_e32 v0, 16, v93
	v_pack_b32_f16 v18, v215, v168
	v_mov_b32_e32 v183, v129
	s_waitcnt vmcnt(1)
	v_lshrrev_b32_e32 v92, 16, v88
	s_waitcnt vmcnt(0)
	v_lshrrev_b32_e32 v99, 16, v28
	v_lshrrev_b32_e32 v96, 16, v29
	;; [unrolled: 1-line block ×3, first 2 shown]
	v_mul_f16_e32 v14, v13, v92
	s_delay_alu instid0(VALU_DEP_4)
	v_mul_f16_e32 v4, v93, v99
	v_mul_f16_e32 v2, v0, v99
	v_mul_f16_e32 v8, v95, v96
	v_mul_f16_e32 v12, v11, v94
	v_fma_f16 v14, v5, v88, -v14
	v_fmac_f16_e32 v4, v0, v28
	v_lshrrev_b32_e32 v0, 16, v95
	v_fma_f16 v2, v93, v28, -v2
	v_lshrrev_b32_e32 v93, 16, v89
	v_mul_f16_e32 v5, v5, v92
	v_fma_f16 v12, v3, v31, -v12
	v_mul_f16_e32 v6, v0, v96
	v_mul_f16_e32 v3, v3, v94
	;; [unrolled: 1-line block ×3, first 2 shown]
	v_fmac_f16_e32 v8, v0, v29
	v_fmac_f16_e32 v5, v13, v88
	v_fma_f16 v6, v95, v29, -v6
	v_lshrrev_b32_e32 v95, 16, v30
	v_fma_f16 v16, v7, v89, -v16
	v_mul_f16_e32 v7, v7, v93
	v_fmac_f16_e32 v3, v11, v31
	v_add_f16_e32 v114, v8, v5
	v_mul_f16_e32 v10, v9, v95
	v_add_f16_e32 v0, v2, v16
	v_fmac_f16_e32 v7, v15, v89
	v_lshrrev_b32_e32 v15, 16, v216
	v_sub_f16_e32 v2, v2, v16
	v_fma_f16 v10, v1, v30, -v10
	v_mul_f16_e32 v1, v1, v95
	v_add_f16_e32 v19, v4, v7
	v_sub_f16_e32 v4, v4, v7
	v_sub_f16_e32 v5, v8, v5
	v_add_f16_e32 v11, v10, v12
	v_fmac_f16_e32 v1, v9, v30
	v_add_f16_e32 v9, v6, v14
	v_add_f16_e32 v120, v114, v19
	v_sub_f16_e32 v6, v6, v14
	v_sub_f16_e32 v7, v12, v10
	v_add_f16_e32 v119, v1, v3
	v_add_f16_e32 v13, v9, v0
	v_sub_f16_e32 v1, v3, v1
	v_sub_f16_e32 v3, v9, v0
	v_add_f16_e32 v12, v7, v6
	v_add_f16_e32 v120, v119, v120
	;; [unrolled: 1-line block ×3, first 2 shown]
	v_sub_f16_e32 v0, v0, v11
	v_sub_f16_e32 v8, v11, v9
	;; [unrolled: 1-line block ×3, first 2 shown]
	v_add_f16_e32 v15, v15, v120
	v_add_f16_e64 v17, v216, v13
	v_sub_f16_e32 v7, v2, v7
	v_sub_f16_e32 v6, v6, v2
	v_add_f16_e32 v2, v12, v2
	v_add_f16_e32 v12, v1, v5
	v_pack_b32_f16 v121, v17, v15
	v_sub_f16_e32 v10, v19, v119
	v_sub_f16_e32 v11, v119, v114
	;; [unrolled: 1-line block ×5, first 2 shown]
	v_add_f16_e32 v4, v12, v4
	v_fmamk_f16 v12, v13, 0xbcab, v17
	v_fmamk_f16 v13, v120, 0xbcab, v15
	v_mul_f16_e32 v0, 0x3a52, v0
	v_mul_f16_e32 v15, 0x2b26, v8
	v_sub_f16_e32 v9, v114, v19
	ds_store_2addr_b32 v124, v18, v121 offset0:8 offset1:204
	v_fmamk_f16 v8, v8, 0x2b26, v0
	v_fma_f16 v15, v3, 0x39e0, -v15
	v_fma_f16 v0, v3, 0xb9e0, -v0
	v_mul_f16_e32 v3, 0x3a52, v10
	v_mul_f16_e32 v10, 0x2b26, v11
	s_delay_alu instid0(VALU_DEP_3) | instskip(NEXT) | instid1(VALU_DEP_3)
	v_add_f16_e32 v0, v0, v12
	v_fmamk_f16 v11, v11, 0x2b26, v3
	s_delay_alu instid0(VALU_DEP_3)
	v_fma_f16 v10, v9, 0x39e0, -v10
	v_fma_f16 v3, v9, 0xb9e0, -v3
	v_mul_f16_e32 v9, 0xb846, v14
	v_mul_f16_e32 v14, 0xbb00, v6
	v_add_f16_e32 v11, v11, v13
	v_add_f16_e32 v10, v10, v13
	;; [unrolled: 1-line block ×3, first 2 shown]
	v_fma_f16 v6, v6, 0x3b00, -v9
	v_fmamk_f16 v9, v7, 0x3574, v9
	v_fmac_f16_e32 v14, 0xb574, v7
	v_mul_f16_e32 v7, 0xb846, v16
	v_mul_f16_e32 v16, 0xbb00, v5
	v_fmac_f16_e32 v6, 0x370e, v2
	v_fmac_f16_e32 v9, 0x370e, v2
	;; [unrolled: 1-line block ×3, first 2 shown]
	v_fma_f16 v5, v5, 0x3b00, -v7
	v_fmamk_f16 v7, v1, 0x3574, v7
	v_fmac_f16_e32 v16, 0xb574, v1
	v_add_f16_e32 v1, v8, v12
	v_add_f16_e32 v8, v15, v12
	v_fmac_f16_e32 v5, 0x370e, v4
	v_fmac_f16_e32 v7, 0x370e, v4
	;; [unrolled: 1-line block ×3, first 2 shown]
	s_delay_alu instid0(VALU_DEP_3) | instskip(NEXT) | instid1(VALU_DEP_3)
	v_sub_f16_e32 v2, v8, v5
	v_add_f16_e32 v12, v7, v1
	v_sub_f16_e32 v1, v1, v7
	v_sub_f16_e32 v7, v11, v9
	v_add_f16_e32 v4, v5, v8
	v_add_f16_e32 v5, v6, v10
	v_sub_f16_e32 v6, v10, v6
	v_add_f16_e32 v8, v16, v0
	v_sub_f16_e32 v10, v3, v14
	v_sub_f16_e32 v0, v0, v16
	v_add_f16_e32 v3, v14, v3
	v_add_f16_e32 v9, v9, v11
	v_pack_b32_f16 v7, v12, v7
	v_pack_b32_f16 v8, v8, v10
	;; [unrolled: 1-line block ×6, first 2 shown]
	ds_store_b32 v155, v7 offset:5488
	ds_store_b32 v155, v8 offset:8624
	;; [unrolled: 1-line block ×6, first 2 shown]
	s_waitcnt lgkmcnt(0)
	s_barrier
	buffer_gl0_inv
	global_load_b32 v74, v[74:75], off offset:1472
	v_add_co_u32 v0, vcc_lo, 0x55c0, v90
	v_add_co_ci_u32_e32 v1, vcc_lo, 0, v91, vcc_lo
	s_clause 0x4
	global_load_b32 v4, v[0:1], off offset:784
	global_load_b32 v5, v[0:1], off offset:1568
	global_load_b32 v6, v[0:1], off offset:2352
	global_load_b32 v7, v[0:1], off offset:3136
	global_load_b32 v11, v[0:1], off offset:3920
	ds_load_2addr_b32 v[2:3], v155 offset1:196
	v_add_co_u32 v0, vcc_lo, 0x6000, v90
	v_add_co_ci_u32_e32 v1, vcc_lo, 0, v91, vcc_lo
	global_load_b32 v16, v[0:1], off offset:2080
	s_waitcnt lgkmcnt(0)
	v_lshrrev_b32_e32 v9, 16, v2
	s_waitcnt vmcnt(6)
	v_lshrrev_b32_e32 v8, 16, v74
	s_delay_alu instid0(VALU_DEP_1) | instskip(NEXT) | instid1(VALU_DEP_3)
	v_mul_f16_e32 v10, v2, v8
	v_mul_f16_e32 v8, v9, v8
	s_delay_alu instid0(VALU_DEP_2) | instskip(NEXT) | instid1(VALU_DEP_2)
	v_fmac_f16_e32 v10, v9, v74
	v_fma_f16 v2, v2, v74, -v8
	v_lshrrev_b32_e32 v8, 16, v3
	s_waitcnt vmcnt(5)
	v_lshrrev_b32_e32 v9, 16, v4
	s_delay_alu instid0(VALU_DEP_3) | instskip(NEXT) | instid1(VALU_DEP_2)
	v_pack_b32_f16 v2, v2, v10
	v_mul_f16_e32 v12, v8, v9
	v_mul_f16_e32 v9, v3, v9
	ds_store_b32 v155, v2
	v_fma_f16 v12, v3, v4, -v12
	ds_load_2addr_b32 v[2:3], v124 offset0:8 offset1:204
	v_fmac_f16_e32 v9, v8, v4
	s_waitcnt vmcnt(4)
	v_lshrrev_b32_e32 v4, 16, v5
	s_waitcnt lgkmcnt(0)
	v_lshrrev_b32_e32 v8, 16, v2
	s_delay_alu instid0(VALU_DEP_2) | instskip(NEXT) | instid1(VALU_DEP_2)
	v_mul_f16_e32 v10, v2, v4
	v_mul_f16_e32 v4, v8, v4
	s_delay_alu instid0(VALU_DEP_2) | instskip(NEXT) | instid1(VALU_DEP_2)
	v_fmac_f16_e32 v10, v8, v5
	v_fma_f16 v2, v2, v5, -v4
	v_pack_b32_f16 v4, v12, v9
	ds_load_2addr_b32 v[12:13], v161 offset0:16 offset1:212
	v_add_nc_u32_e32 v5, 0x300, v155
	v_pack_b32_f16 v2, v2, v10
	ds_store_2addr_b32 v5, v4, v2 offset0:4 offset1:200
	v_lshrrev_b32_e32 v2, 16, v3
	s_waitcnt vmcnt(3)
	v_lshrrev_b32_e32 v4, 16, v6
	s_delay_alu instid0(VALU_DEP_1) | instskip(SKIP_1) | instid1(VALU_DEP_2)
	v_mul_f16_e32 v5, v2, v4
	v_mul_f16_e32 v4, v3, v4
	v_fma_f16 v3, v3, v6, -v5
	s_delay_alu instid0(VALU_DEP_2)
	v_fmac_f16_e32 v4, v2, v6
	s_waitcnt vmcnt(2)
	v_lshrrev_b32_e32 v2, 16, v7
	s_waitcnt lgkmcnt(1)
	v_lshrrev_b32_e32 v5, 16, v12
	v_pack_b32_f16 v3, v3, v4
	s_delay_alu instid0(VALU_DEP_3) | instskip(NEXT) | instid1(VALU_DEP_3)
	v_mul_f16_e32 v6, v12, v2
	v_mul_f16_e32 v2, v5, v2
	v_add_nc_u32_e32 v4, 0x900, v155
	s_delay_alu instid0(VALU_DEP_3) | instskip(NEXT) | instid1(VALU_DEP_3)
	v_fmac_f16_e32 v6, v5, v7
	v_fma_f16 v2, v12, v7, -v2
	s_delay_alu instid0(VALU_DEP_1)
	v_pack_b32_f16 v2, v2, v6
	ds_store_2addr_b32 v4, v3, v2 offset0:12 offset1:208
	s_clause 0x1
	global_load_b32 v2, v[0:1], off offset:3648
	global_load_b32 v3, v[0:1], off offset:2864
	v_add_co_u32 v0, vcc_lo, 0x7000, v90
	v_add_co_ci_u32_e32 v1, vcc_lo, 0, v91, vcc_lo
	s_clause 0x1
	global_load_b32 v12, v[0:1], off offset:336
	global_load_b32 v17, v[0:1], off offset:1120
	ds_load_2addr_b32 v[74:75], v162 offset0:32 offset1:228
	ds_load_2addr_b32 v[215:216], v128 offset0:24 offset1:220
	s_waitcnt lgkmcnt(1)
	v_lshrrev_b32_e32 v5, 16, v74
	s_waitcnt vmcnt(3)
	v_lshrrev_b32_e32 v4, 16, v2
	s_delay_alu instid0(VALU_DEP_1) | instskip(NEXT) | instid1(VALU_DEP_3)
	v_mul_f16_e32 v6, v74, v4
	v_mul_f16_e32 v4, v5, v4
	s_delay_alu instid0(VALU_DEP_2) | instskip(NEXT) | instid1(VALU_DEP_2)
	v_fmac_f16_e32 v6, v5, v2
	v_fma_f16 v2, v74, v2, -v4
	s_waitcnt vmcnt(2)
	v_lshrrev_b32_e32 v4, 16, v3
	s_waitcnt lgkmcnt(0)
	v_lshrrev_b32_e32 v5, 16, v216
	v_pack_b32_f16 v2, v2, v6
	s_delay_alu instid0(VALU_DEP_3) | instskip(NEXT) | instid1(VALU_DEP_3)
	v_mul_f16_e64 v7, v216, v4
	v_mul_f16_e32 v4, v5, v4
	s_delay_alu instid0(VALU_DEP_2) | instskip(NEXT) | instid1(VALU_DEP_2)
	v_fmac_f16_e32 v7, v5, v3
	v_fma_f16 v3, v216, v3, -v4
	v_add_nc_u32_e32 v4, 0x1500, v155
	s_delay_alu instid0(VALU_DEP_2)
	v_pack_b32_f16 v3, v3, v7
	ds_store_2addr_b32 v4, v3, v2 offset0:28 offset1:224
	v_add_co_u32 v2, vcc_lo, 0x8000, v90
	v_add_co_ci_u32_e32 v3, vcc_lo, 0, v91, vcc_lo
	s_clause 0x3
	global_load_b32 v4, v[0:1], off offset:2688
	global_load_b32 v18, v[0:1], off offset:3472
	;; [unrolled: 1-line block ×4, first 2 shown]
	ds_load_2addr_b32 v[7:8], v160 offset0:48 offset1:244
	ds_load_2addr_b32 v[9:10], v127 offset0:40 offset1:236
	s_waitcnt lgkmcnt(1)
	v_lshrrev_b32_e32 v5, 16, v7
	s_waitcnt vmcnt(3)
	v_lshrrev_b32_e32 v1, 16, v4
	s_delay_alu instid0(VALU_DEP_1) | instskip(NEXT) | instid1(VALU_DEP_3)
	v_mul_f16_e32 v6, v7, v1
	v_mul_f16_e32 v1, v5, v1
	s_delay_alu instid0(VALU_DEP_2) | instskip(NEXT) | instid1(VALU_DEP_2)
	v_fmac_f16_e32 v6, v5, v4
	v_fma_f16 v1, v7, v4, -v1
	s_waitcnt vmcnt(0)
	v_lshrrev_b32_e32 v4, 16, v0
	s_waitcnt lgkmcnt(0)
	v_lshrrev_b32_e32 v5, 16, v10
	v_pack_b32_f16 v1, v1, v6
	s_delay_alu instid0(VALU_DEP_3) | instskip(NEXT) | instid1(VALU_DEP_3)
	v_mul_f16_e32 v7, v10, v4
	v_mul_f16_e32 v4, v5, v4
	s_delay_alu instid0(VALU_DEP_2) | instskip(NEXT) | instid1(VALU_DEP_2)
	v_fmac_f16_e32 v7, v5, v0
	v_fma_f16 v0, v10, v0, -v4
	v_add_nc_u32_e32 v4, 0x2100, v155
	s_delay_alu instid0(VALU_DEP_2)
	v_pack_b32_f16 v0, v0, v7
	ds_store_2addr_b32 v4, v0, v1 offset0:44 offset1:240
	s_clause 0x2
	global_load_b32 v0, v[2:3], off offset:1728
	global_load_b32 v7, v[2:3], off offset:2512
	;; [unrolled: 1-line block ×3, first 2 shown]
	ds_load_2addr_b32 v[5:6], v159 offset1:196
	s_waitcnt lgkmcnt(0)
	v_lshrrev_b32_e32 v4, 16, v5
	s_waitcnt vmcnt(2)
	v_lshrrev_b32_e32 v1, 16, v0
	s_delay_alu instid0(VALU_DEP_1) | instskip(NEXT) | instid1(VALU_DEP_3)
	v_mul_f16_e32 v14, v5, v1
	v_mul_f16_e32 v1, v4, v1
	s_delay_alu instid0(VALU_DEP_2) | instskip(NEXT) | instid1(VALU_DEP_2)
	v_fmac_f16_e32 v14, v4, v0
	v_fma_f16 v0, v5, v0, -v1
	global_load_b32 v1, v[2:3], off offset:944
	ds_load_2addr_b32 v[4:5], v194 offset0:56 offset1:252
	v_pack_b32_f16 v0, v0, v14
	v_add_co_u32 v14, vcc_lo, 0x9000, v90
	s_waitcnt lgkmcnt(0)
	v_lshrrev_b32_e32 v74, 16, v5
	s_waitcnt vmcnt(0)
	v_lshrrev_b32_e32 v15, 16, v1
	s_delay_alu instid0(VALU_DEP_1) | instskip(NEXT) | instid1(VALU_DEP_3)
	v_mul_f16_e32 v114, v5, v15
	v_mul_f16_e32 v15, v74, v15
	s_delay_alu instid0(VALU_DEP_2) | instskip(NEXT) | instid1(VALU_DEP_2)
	v_fmac_f16_e32 v114, v74, v1
	v_fma_f16 v1, v5, v1, -v15
	v_add_nc_u32_e32 v5, 0x2d80, v155
	v_add_co_ci_u32_e32 v15, vcc_lo, 0, v91, vcc_lo
	s_delay_alu instid0(VALU_DEP_3)
	v_pack_b32_f16 v1, v1, v114
	ds_store_2addr_b32 v5, v1, v0 offset0:28 offset1:224
	s_clause 0x3
	global_load_b32 v5, v[14:15], off offset:1552
	global_load_b32 v74, v[14:15], off offset:2336
	;; [unrolled: 1-line block ×4, first 2 shown]
	ds_load_2addr_b32 v[1:2], v157 offset0:16 offset1:212
	s_waitcnt lgkmcnt(0)
	v_lshrrev_b32_e32 v119, 16, v1
	s_waitcnt vmcnt(0)
	v_lshrrev_b32_e32 v114, 16, v0
	s_delay_alu instid0(VALU_DEP_1) | instskip(NEXT) | instid1(VALU_DEP_3)
	v_mul_f16_e32 v120, v1, v114
	v_mul_f16_e32 v114, v119, v114
	s_delay_alu instid0(VALU_DEP_2) | instskip(NEXT) | instid1(VALU_DEP_2)
	v_fmac_f16_e32 v120, v119, v0
	v_fma_f16 v114, v1, v0, -v114
	ds_load_2addr_b32 v[0:1], v135 offset0:8 offset1:204
	v_lshrrev_b32_e32 v119, 16, v3
	s_waitcnt lgkmcnt(0)
	v_lshrrev_b32_e32 v121, 16, v1
	s_delay_alu instid0(VALU_DEP_2) | instskip(NEXT) | instid1(VALU_DEP_2)
	v_mul_f16_e32 v122, v1, v119
	v_mul_f16_e32 v119, v121, v119
	s_delay_alu instid0(VALU_DEP_2) | instskip(NEXT) | instid1(VALU_DEP_2)
	v_fmac_f16_e32 v122, v121, v3
	v_fma_f16 v1, v1, v3, -v119
	v_pack_b32_f16 v3, v114, v120
	v_add_nc_u32_e32 v114, 0x3a00, v155
	s_delay_alu instid0(VALU_DEP_3)
	v_pack_b32_f16 v1, v1, v122
	ds_store_2addr_b32 v114, v1, v3 offset0:12 offset1:208
	s_clause 0x1
	global_load_b32 v1, v[14:15], off offset:3904
	global_load_b32 v3, v[14:15], off offset:3120
	v_add_co_u32 v14, vcc_lo, 0xa000, v90
	v_add_co_ci_u32_e32 v15, vcc_lo, 0, v91, vcc_lo
	s_clause 0x2
	global_load_b32 v114, v[14:15], off offset:592
	global_load_b32 v119, v[14:15], off offset:1376
	;; [unrolled: 1-line block ×3, first 2 shown]
	ds_load_2addr_b32 v[14:15], v151 offset0:32 offset1:228
	s_waitcnt lgkmcnt(0)
	v_lshrrev_b32_e32 v91, 16, v14
	s_waitcnt vmcnt(4)
	v_lshrrev_b32_e32 v90, 16, v1
	s_delay_alu instid0(VALU_DEP_1) | instskip(NEXT) | instid1(VALU_DEP_3)
	v_mul_f16_e32 v121, v14, v90
	v_mul_f16_e32 v90, v91, v90
	s_delay_alu instid0(VALU_DEP_2) | instskip(NEXT) | instid1(VALU_DEP_2)
	v_fmac_f16_e32 v121, v91, v1
	v_fma_f16 v1, v14, v1, -v90
	ds_load_2addr_b32 v[90:91], v134 offset0:24 offset1:220
	s_waitcnt vmcnt(3)
	v_lshrrev_b32_e32 v14, 16, v3
	v_pack_b32_f16 v1, v1, v121
	s_waitcnt lgkmcnt(0)
	v_lshrrev_b32_e32 v122, 16, v91
	s_delay_alu instid0(VALU_DEP_3) | instskip(NEXT) | instid1(VALU_DEP_2)
	v_mul_f16_e32 v125, v91, v14
	v_mul_f16_e32 v14, v122, v14
	s_delay_alu instid0(VALU_DEP_2) | instskip(NEXT) | instid1(VALU_DEP_2)
	v_fmac_f16_e32 v125, v122, v3
	v_fma_f16 v3, v91, v3, -v14
	v_add_nc_u32_e32 v14, 0x4600, v155
	s_delay_alu instid0(VALU_DEP_2) | instskip(SKIP_3) | instid1(VALU_DEP_1)
	v_pack_b32_f16 v3, v3, v125
	ds_store_2addr_b32 v14, v3, v1 offset0:28 offset1:224
	v_lshrrev_b32_e32 v1, 16, v13
	v_lshrrev_b32_e32 v3, 16, v11
	v_mul_f16_e32 v14, v1, v3
	v_mul_f16_e32 v3, v13, v3
	s_delay_alu instid0(VALU_DEP_2) | instskip(NEXT) | instid1(VALU_DEP_2)
	v_fma_f16 v13, v13, v11, -v14
	v_fmac_f16_e32 v3, v1, v11
	v_lshrrev_b32_e32 v1, 16, v75
	v_lshrrev_b32_e32 v11, 16, v12
	s_delay_alu instid0(VALU_DEP_1) | instskip(SKIP_1) | instid1(VALU_DEP_2)
	v_mul_f16_e32 v14, v1, v11
	v_mul_f16_e32 v11, v75, v11
	v_fma_f16 v14, v75, v12, -v14
	s_delay_alu instid0(VALU_DEP_2) | instskip(SKIP_2) | instid1(VALU_DEP_1)
	v_fmac_f16_e32 v11, v1, v12
	v_lshrrev_b32_e32 v1, 16, v8
	v_lshrrev_b32_e32 v12, 16, v18
	v_mul_f16_e32 v75, v1, v12
	v_mul_f16_e32 v12, v8, v12
	s_delay_alu instid0(VALU_DEP_2) | instskip(NEXT) | instid1(VALU_DEP_2)
	v_fma_f16 v8, v8, v18, -v75
	v_fmac_f16_e32 v12, v1, v18
	v_lshrrev_b32_e32 v1, 16, v6
	v_lshrrev_b32_e32 v18, 16, v7
	s_delay_alu instid0(VALU_DEP_1) | instskip(SKIP_1) | instid1(VALU_DEP_2)
	v_mul_f16_e32 v75, v1, v18
	v_mul_f16_e32 v18, v6, v18
	v_fma_f16 v6, v6, v7, -v75
	s_delay_alu instid0(VALU_DEP_2) | instskip(SKIP_2) | instid1(VALU_DEP_1)
	v_fmac_f16_e32 v18, v1, v7
	v_lshrrev_b32_e32 v1, 16, v2
	v_lshrrev_b32_e32 v7, 16, v5
	v_mul_f16_e32 v75, v1, v7
	v_mul_f16_e32 v7, v2, v7
	s_delay_alu instid0(VALU_DEP_2) | instskip(NEXT) | instid1(VALU_DEP_2)
	v_fma_f16 v2, v2, v5, -v75
	v_fmac_f16_e32 v7, v1, v5
	v_lshrrev_b32_e32 v1, 16, v215
	v_lshrrev_b32_e32 v5, 16, v16
	s_delay_alu instid0(VALU_DEP_1) | instskip(SKIP_1) | instid1(VALU_DEP_2)
	v_mul_f16_e32 v75, v1, v5
	v_mul_f16_e64 v5, v215, v5
	v_fma_f16 v75, v215, v16, -v75
	s_delay_alu instid0(VALU_DEP_2) | instskip(SKIP_3) | instid1(VALU_DEP_1)
	v_fmac_f16_e32 v5, v1, v16
	v_lshrrev_b32_e32 v1, 16, v15
	s_waitcnt vmcnt(2)
	v_lshrrev_b32_e32 v16, 16, v114
	v_mul_f16_e32 v91, v1, v16
	v_mul_f16_e32 v16, v15, v16
	s_delay_alu instid0(VALU_DEP_2) | instskip(NEXT) | instid1(VALU_DEP_2)
	v_fma_f16 v15, v15, v114, -v91
	v_fmac_f16_e32 v16, v1, v114
	v_pack_b32_f16 v1, v13, v3
	v_pack_b32_f16 v3, v75, v5
	ds_store_2addr_b32 v192, v1, v3 offset0:20 offset1:216
	v_lshrrev_b32_e32 v1, 16, v9
	v_lshrrev_b32_e32 v3, 16, v17
	s_delay_alu instid0(VALU_DEP_1) | instskip(SKIP_1) | instid1(VALU_DEP_2)
	v_mul_f16_e32 v5, v1, v3
	v_mul_f16_e32 v3, v9, v3
	v_fma_f16 v5, v9, v17, -v5
	s_delay_alu instid0(VALU_DEP_2) | instskip(SKIP_2) | instid1(VALU_DEP_3)
	v_fmac_f16_e32 v3, v1, v17
	v_lshrrev_b32_e32 v1, 16, v4
	v_lshrrev_b32_e32 v9, 16, v19
	v_pack_b32_f16 v3, v5, v3
	s_delay_alu instid0(VALU_DEP_2) | instskip(SKIP_1) | instid1(VALU_DEP_2)
	v_mul_f16_e32 v13, v1, v9
	v_mul_f16_e32 v9, v4, v9
	v_fma_f16 v4, v4, v19, -v13
	s_delay_alu instid0(VALU_DEP_2)
	v_fmac_f16_e32 v9, v1, v19
	v_pack_b32_f16 v1, v14, v11
	ds_store_2addr_b32 v186, v1, v3 offset0:36 offset1:232
	v_pack_b32_f16 v1, v8, v12
	v_pack_b32_f16 v3, v4, v9
	ds_store_2addr_b32 v129, v1, v3 offset0:52 offset1:248
	v_lshrrev_b32_e32 v1, 16, v0
	v_lshrrev_b32_e32 v3, 16, v10
	s_delay_alu instid0(VALU_DEP_1) | instskip(SKIP_1) | instid1(VALU_DEP_2)
	v_mul_f16_e32 v4, v1, v3
	v_mul_f16_e32 v3, v0, v3
	v_fma_f16 v0, v0, v10, -v4
	s_delay_alu instid0(VALU_DEP_2) | instskip(SKIP_2) | instid1(VALU_DEP_3)
	v_fmac_f16_e32 v3, v1, v10
	v_lshrrev_b32_e32 v1, 16, v90
	v_lshrrev_b32_e32 v4, 16, v74
	v_pack_b32_f16 v0, v0, v3
	s_delay_alu instid0(VALU_DEP_2) | instskip(SKIP_1) | instid1(VALU_DEP_2)
	v_mul_f16_e32 v5, v1, v4
	v_mul_f16_e32 v4, v90, v4
	v_fma_f16 v5, v90, v74, -v5
	s_delay_alu instid0(VALU_DEP_2)
	v_fmac_f16_e32 v4, v1, v74
	v_pack_b32_f16 v1, v6, v18
	ds_store_2addr_b32 v184, v1, v0 offset0:4 offset1:200
	v_pack_b32_f16 v0, v2, v7
	v_pack_b32_f16 v1, v5, v4
	s_waitcnt vmcnt(1)
	v_lshrrev_b32_e32 v2, 16, v119
	ds_store_2addr_b32 v187, v0, v1 offset0:20 offset1:216
	ds_load_2addr_b32 v[0:1], v193 offset0:40 offset1:236
	s_waitcnt lgkmcnt(0)
	v_lshrrev_b32_e32 v3, 16, v0
	v_mul_f16_e32 v4, v0, v2
	s_delay_alu instid0(VALU_DEP_2) | instskip(NEXT) | instid1(VALU_DEP_2)
	v_mul_f16_e32 v2, v3, v2
	v_fmac_f16_e32 v4, v3, v119
	s_waitcnt vmcnt(0)
	v_lshrrev_b32_e32 v3, 16, v120
	s_delay_alu instid0(VALU_DEP_3) | instskip(SKIP_1) | instid1(VALU_DEP_2)
	v_fma_f16 v0, v0, v119, -v2
	v_lshrrev_b32_e32 v2, 16, v1
	v_pack_b32_f16 v0, v0, v4
	s_delay_alu instid0(VALU_DEP_2) | instskip(SKIP_1) | instid1(VALU_DEP_2)
	v_mul_f16_e32 v5, v2, v3
	v_mul_f16_e32 v3, v1, v3
	v_fma_f16 v1, v1, v120, -v5
	s_delay_alu instid0(VALU_DEP_2)
	v_fmac_f16_e32 v3, v2, v120
	v_pack_b32_f16 v2, v15, v16
	ds_store_2addr_b32 v189, v2, v0 offset0:36 offset1:232
	v_pack_b32_f16 v0, v1, v3
	ds_store_b32 v155, v0 offset:21168
	s_waitcnt lgkmcnt(0)
	s_barrier
	buffer_gl0_inv
	ds_load_2addr_b32 v[74:75], v161 offset0:16 offset1:212
	ds_load_2addr_b32 v[90:91], v151 offset0:32 offset1:228
	;; [unrolled: 1-line block ×5, first 2 shown]
	ds_load_2addr_b32 v[10:11], v159 offset1:196
	s_waitcnt lgkmcnt(5)
	v_lshrrev_b32_e32 v0, 16, v74
	s_waitcnt lgkmcnt(4)
	v_lshrrev_b32_e32 v1, 16, v90
	;; [unrolled: 2-line block ×3, first 2 shown]
	v_add_f16_e32 v14, v16, v8
	s_waitcnt lgkmcnt(0)
	v_lshrrev_b32_e32 v5, 16, v10
	v_add_f16_e32 v2, v0, v1
	v_sub_f16_e32 v0, v0, v1
	v_lshrrev_b32_e32 v1, 16, v16
	v_add_f16_e32 v7, v12, v10
	v_sub_f16_e32 v16, v16, v8
	v_sub_f16_e32 v8, v10, v12
	;; [unrolled: 1-line block ×3, first 2 shown]
	v_add_f16_e32 v4, v1, v3
	v_sub_f16_e32 v1, v1, v3
	v_lshrrev_b32_e32 v3, 16, v12
	v_sub_f16_e32 v19, v7, v14
	v_add_f16_e32 v12, v8, v16
	s_delay_alu instid0(VALU_DEP_3)
	v_add_f16_e32 v6, v3, v5
	v_sub_f16_e32 v3, v5, v3
	v_add_f16_e32 v5, v74, v90
	v_sub_f16_e32 v74, v8, v16
	v_sub_f16_e32 v90, v10, v8
	v_add_f16_e32 v12, v12, v10
	v_add_f16_e32 v8, v3, v1
	v_add_f16_e32 v15, v14, v5
	v_sub_f16_e32 v18, v5, v7
	v_sub_f16_e32 v119, v3, v1
	;; [unrolled: 1-line block ×3, first 2 shown]
	v_add_f16_e32 v120, v8, v0
	v_add_f16_e32 v15, v7, v15
	;; [unrolled: 1-line block ×3, first 2 shown]
	v_mul_f16_e32 v18, 0x3a52, v18
	v_mul_f16_e32 v74, 0x3846, v74
	;; [unrolled: 1-line block ×3, first 2 shown]
	v_sub_f16_e32 v5, v14, v5
	v_add_f16_e32 v114, v6, v7
	v_sub_f16_e32 v7, v2, v6
	v_sub_f16_e32 v6, v6, v4
	v_fmamk_f16 v125, v19, 0x2b26, v18
	v_fma_f16 v132, 0xb574, v3, v119
	v_fma_f16 v133, 0xb574, v90, v74
	v_mul_f16_e32 v121, 0x3a52, v7
	ds_load_2addr_b32 v[7:8], v155 offset1:196
	v_sub_f16_e32 v2, v4, v2
	v_sub_f16_e32 v4, v16, v10
	v_fmac_f16_e64 v132, 0xb70e, v120
	v_fma_f16 v129, 0x2b26, v6, v121
	v_fmac_f16_e64 v133, 0xb70e, v12
	v_sub_f16_e32 v0, v1, v0
	v_mul_f16_e32 v1, 0x2b26, v19
	v_mul_f16_e32 v6, 0x2b26, v6
	;; [unrolled: 1-line block ×3, first 2 shown]
	v_fma_f16 v10, v4, 0xbb00, -v74
	v_fma_f16 v74, v0, 0xbb00, -v119
	;; [unrolled: 1-line block ×4, first 2 shown]
	v_fmac_f16_e32 v16, 0x3574, v90
	v_mul_f16_e32 v90, 0x3b00, v0
	v_fma_f16 v5, v5, 0xb9e0, -v18
	v_fma_f16 v2, v2, 0xb9e0, -v121
	v_fmac_f16_e32 v10, 0xb70e, v12
	v_fmac_f16_e32 v74, 0xb70e, v120
	s_waitcnt lgkmcnt(0)
	v_add_f16_e32 v122, v7, v15
	v_lshrrev_b32_e32 v7, 16, v7
	v_fmac_f16_e32 v90, 0x3574, v3
	v_fmac_f16_e32 v16, 0xb70e, v12
	s_delay_alu instid0(VALU_DEP_4) | instskip(NEXT) | instid1(VALU_DEP_4)
	v_fmamk_f16 v15, v15, 0xbcab, v122
	v_add_f16_e32 v7, v7, v114
	s_delay_alu instid0(VALU_DEP_4) | instskip(NEXT) | instid1(VALU_DEP_3)
	v_fmac_f16_e32 v90, 0xb70e, v120
	v_add_f16_e32 v125, v125, v15
	s_delay_alu instid0(VALU_DEP_3)
	v_fmamk_f16 v114, v114, 0xbcab, v7
	v_add_f16_e32 v119, v1, v15
	v_add_f16_e32 v121, v5, v15
	v_pack_b32_f16 v122, v122, v7
	v_add_f16_e64 v153, v125, v132
	v_add_f16_e64 v129, v129, v114
	v_sub_f16_e32 v0, v119, v74
	v_add_f16_e32 v74, v74, v119
	s_delay_alu instid0(VALU_DEP_3) | instskip(NEXT) | instid1(VALU_DEP_1)
	v_sub_f16_e64 v156, v129, v133
	v_pack_b32_f16 v153, v153, v156
	v_add_f16_e64 v156, v6, v114
	v_add_f16_e32 v114, v2, v114
	s_delay_alu instid0(VALU_DEP_2) | instskip(SKIP_1) | instid1(VALU_DEP_2)
	v_add_f16_e64 v1, v10, v156
	v_sub_f16_e64 v10, v156, v10
	v_pack_b32_f16 v12, v0, v1
	v_add_f16_e32 v0, v90, v121
	v_sub_f16_e32 v1, v114, v16
	v_sub_f16_e32 v90, v121, v90
	v_add_f16_e32 v16, v16, v114
	v_pack_b32_f16 v10, v74, v10
	v_add_f16_e64 v74, v133, v129
	v_pack_b32_f16 v120, v0, v1
	ds_load_2addr_b32 v[18:19], v124 offset0:8 offset1:204
	ds_load_2addr_b32 v[14:15], v128 offset0:24 offset1:220
	ds_load_2addr_b32 v[215:216], v127 offset0:40 offset1:236
	ds_load_2addr_b32 v[4:5], v194 offset0:56 offset1:252
	ds_load_2addr_b32 v[6:7], v135 offset0:8 offset1:204
	ds_load_2addr_b32 v[0:1], v134 offset0:24 offset1:220
	ds_load_2addr_b32 v[2:3], v193 offset0:40 offset1:236
	s_waitcnt lgkmcnt(0)
	s_barrier
	buffer_gl0_inv
	ds_store_2addr_b32 v172, v122, v153 offset1:1
	ds_store_2addr_b32 v172, v120, v12 offset0:2 offset1:3
	v_sub_f16_e64 v12, v125, v132
	v_pack_b32_f16 v16, v90, v16
	v_lshrrev_b32_e32 v90, 16, v91
	v_add_f16_e32 v114, v13, v11
	v_lshrrev_b32_e32 v120, 16, v8
	v_pack_b32_f16 v12, v12, v74
	ds_store_2addr_b32 v172, v10, v16 offset0:4 offset1:5
	ds_store_b32 v172, v12 offset:24
	v_lshrrev_b32_e32 v10, 16, v17
	v_add_f16_e32 v12, v17, v9
	v_sub_f16_e32 v16, v17, v9
	v_lshrrev_b32_e32 v9, 16, v9
	v_lshrrev_b32_e32 v17, 16, v75
	v_add_f16_e32 v74, v75, v91
	v_sub_f16_e32 v75, v75, v91
	v_lshrrev_b32_e32 v91, 16, v13
	v_sub_f16_e32 v13, v11, v13
	v_lshrrev_b32_e32 v11, 16, v11
	v_add_f16_e32 v119, v17, v90
	v_sub_f16_e32 v17, v17, v90
	v_add_f16_e32 v90, v10, v9
	v_sub_f16_e32 v9, v10, v9
	v_add_f16_e32 v10, v91, v11
	v_sub_f16_e32 v11, v11, v91
	v_add_f16_e32 v91, v12, v74
	v_add_f16_e32 v122, v90, v119
	v_sub_f16_e64 v132, v13, v16
	v_sub_f16_e32 v125, v119, v10
	v_sub_f16_e32 v121, v74, v114
	v_add_f16_e32 v91, v114, v91
	v_sub_f16_e32 v114, v114, v12
	v_add_f16_e32 v122, v10, v122
	v_sub_f16_e32 v10, v10, v90
	v_add_f16_e64 v129, v13, v16
	v_add_f16_e64 v133, v11, v9
	v_sub_f16_e64 v153, v11, v9
	v_mul_f16_e32 v125, 0x3a52, v125
	v_mul_f16_e64 v132, 0x3846, v132
	v_sub_f16_e32 v16, v16, v75
	v_add_f16_e32 v8, v8, v91
	v_sub_f16_e32 v13, v75, v13
	v_add_f16_e64 v129, v129, v75
	v_sub_f16_e32 v11, v17, v11
	v_add_f16_e64 v133, v133, v17
	v_mul_f16_e32 v121, 0x3a52, v121
	v_mul_f16_e64 v153, 0x3846, v153
	v_add_f16_e32 v120, v120, v122
	v_fma_f16 v158, 0x2b26, v10, v125
	v_sub_f16_e32 v12, v12, v74
	v_sub_f16_e32 v74, v90, v119
	;; [unrolled: 1-line block ×3, first 2 shown]
	v_mul_f16_e32 v17, 0x2b26, v114
	v_mul_f16_e32 v10, 0x2b26, v10
	v_fma_f16 v75, v16, 0xbb00, -v132
	v_mul_f16_e32 v16, 0x3b00, v16
	v_fmamk_f16 v91, v91, 0xbcab, v8
	v_fma_f16 v156, 0x2b26, v114, v121
	v_fmamk_f16 v122, v122, 0xbcab, v120
	v_fma_f16 v168, 0xb574, v11, v153
	v_fma_f16 v172, 0xb574, v13, v132
	v_fma_f16 v17, v12, 0x39e0, -v17
	v_fma_f16 v10, v74, 0x39e0, -v10
	v_fmac_f16_e32 v16, 0x3574, v13
	v_fma_f16 v13, v9, 0xbb00, -v153
	v_mul_f16_e32 v9, 0x3b00, v9
	v_add_f16_e64 v156, v156, v91
	v_add_f16_e64 v158, v158, v122
	v_fmac_f16_e64 v168, 0xb70e, v133
	v_fmac_f16_e64 v172, 0xb70e, v129
	v_fma_f16 v12, v12, 0xb9e0, -v121
	v_fma_f16 v74, v74, 0xb9e0, -v125
	v_fmac_f16_e32 v9, 0x3574, v11
	v_add_f16_e32 v11, v17, v91
	v_add_f16_e32 v10, v10, v122
	v_fmac_f16_e64 v75, 0xb70e, v129
	v_fmac_f16_e64 v13, 0xb70e, v133
	v_add_f16_e64 v176, v156, v168
	v_sub_f16_e64 v177, v158, v172
	v_add_f16_e32 v12, v12, v91
	v_add_f16_e32 v17, v74, v122
	v_fmac_f16_e64 v16, 0xb70e, v129
	v_fmac_f16_e64 v9, 0xb70e, v133
	v_sub_f16_e32 v74, v11, v13
	v_add_f16_e32 v90, v75, v10
	v_pack_b32_f16 v176, v176, v177
	v_pack_b32_f16 v8, v8, v120
	v_sub_f16_e32 v91, v17, v16
	v_sub_f16_e32 v10, v10, v75
	v_pack_b32_f16 v74, v74, v90
	v_add_f16_e32 v90, v9, v12
	v_sub_f16_e32 v9, v12, v9
	s_delay_alu instid0(VALU_DEP_2)
	v_pack_b32_f16 v90, v90, v91
	ds_store_2addr_b32 v171, v8, v176 offset1:1
	v_add_f16_e32 v8, v13, v11
	v_add_f16_e32 v11, v16, v17
	v_lshrrev_b32_e32 v13, 16, v6
	ds_store_2addr_b32 v171, v90, v74 offset0:2 offset1:3
	v_add_f16_e64 v17, v215, v0
	v_pack_b32_f16 v8, v8, v10
	v_pack_b32_f16 v9, v9, v11
	v_sub_f16_e64 v10, v156, v168
	v_add_f16_e64 v11, v172, v158
	v_add_f16_e32 v74, v4, v6
	s_delay_alu instid0(VALU_DEP_2)
	v_pack_b32_f16 v10, v10, v11
	ds_store_2addr_b32 v171, v8, v9 offset0:4 offset1:5
	ds_store_b32 v171, v10 offset:24
	v_lshrrev_b32_e32 v8, 16, v14
	v_lshrrev_b32_e32 v9, 16, v2
	;; [unrolled: 1-line block ×3, first 2 shown]
	v_sub_f16_e64 v0, v215, v0
	s_delay_alu instid0(VALU_DEP_3) | instskip(SKIP_2) | instid1(VALU_DEP_1)
	v_add_f16_e32 v10, v8, v9
	v_sub_f16_e32 v8, v8, v9
	v_lshrrev_b32_e32 v9, 16, v215
	v_add_f16_e32 v12, v9, v11
	v_sub_f16_e32 v9, v9, v11
	v_lshrrev_b32_e32 v11, 16, v4
	v_sub_f16_e32 v4, v6, v4
	s_delay_alu instid0(VALU_DEP_4) | instskip(NEXT) | instid1(VALU_DEP_3)
	v_add_f16_e32 v91, v12, v10
	v_add_f16_e32 v16, v11, v13
	v_sub_f16_e32 v11, v13, v11
	v_add_f16_e32 v13, v14, v2
	v_sub_f16_e32 v2, v14, v2
	;; [unrolled: 2-line block ×3, first 2 shown]
	v_add_f16_e32 v119, v11, v9
	v_add_f16_e32 v75, v17, v13
	v_sub_f16_e32 v90, v13, v74
	v_add_f16_e32 v91, v16, v91
	v_sub_f16_e32 v114, v10, v16
	v_sub_f16_e32 v16, v16, v12
	v_add_f16_e32 v75, v74, v75
	v_sub_f16_e32 v74, v74, v17
	v_sub_f16_e32 v4, v2, v4
	v_add_f16_e32 v6, v6, v2
	v_sub_f16_e32 v120, v11, v9
	v_sub_f16_e32 v11, v8, v11
	v_add_f16_e32 v119, v119, v8
	v_mul_f16_e32 v90, 0x3a52, v90
	v_mul_f16_e32 v14, 0x3846, v14
	v_add_f16_e32 v121, v18, v75
	v_lshrrev_b32_e32 v18, 16, v18
	v_sub_f16_e32 v13, v17, v13
	v_sub_f16_e32 v0, v0, v2
	;; [unrolled: 1-line block ×3, first 2 shown]
	v_mul_f16_e32 v8, 0x2b26, v74
	v_mul_f16_e32 v120, 0x3846, v120
	v_add_f16_e32 v18, v18, v91
	v_sub_f16_e32 v10, v12, v10
	v_fma_f16 v9, v13, 0xb9e0, -v90
	v_fma_f16 v8, v13, 0x39e0, -v8
	v_mul_f16_e32 v12, 0x2b26, v16
	v_fma_f16 v13, v0, 0xbb00, -v14
	v_mul_f16_e32 v0, 0x3b00, v0
	v_mul_f16_e32 v114, 0x3a52, v114
	v_fmamk_f16 v75, v75, 0xbcab, v121
	v_fmamk_f16 v91, v91, 0xbcab, v18
	v_fma_f16 v132, 0xb574, v4, v14
	v_fma_f16 v12, v10, 0x39e0, -v12
	v_fmac_f16_e32 v0, 0x3574, v4
	v_fma_f16 v4, v2, 0xbb00, -v120
	v_mul_f16_e32 v2, 0x3b00, v2
	v_fmamk_f16 v122, v74, 0x2b26, v90
	v_fmamk_f16 v125, v16, 0x2b26, v114
	v_fma_f16 v129, 0xb574, v11, v120
	v_fma_f16 v10, v10, 0xb9e0, -v114
	v_fmac_f16_e32 v2, 0x3574, v11
	v_add_f16_e32 v8, v8, v75
	v_add_f16_e32 v11, v12, v91
	v_fmac_f16_e32 v13, 0xb70e, v6
	v_fmac_f16_e32 v4, 0xb70e, v119
	v_add_f16_e32 v122, v122, v75
	v_add_f16_e32 v125, v125, v91
	v_fmac_f16_e64 v129, 0xb70e, v119
	v_fmac_f16_e64 v132, 0xb70e, v6
	v_add_f16_e32 v9, v9, v75
	v_add_f16_e32 v10, v10, v91
	v_fmac_f16_e32 v0, 0xb70e, v6
	v_fmac_f16_e32 v2, 0xb70e, v119
	v_sub_f16_e32 v6, v8, v4
	v_add_f16_e32 v12, v13, v11
	v_add_f16_e64 v133, v122, v129
	v_sub_f16_e64 v153, v125, v132
	v_sub_f16_e32 v14, v10, v0
	v_pack_b32_f16 v18, v121, v18
	v_pack_b32_f16 v6, v6, v12
	v_add_f16_e32 v12, v2, v9
	v_pack_b32_f16 v133, v133, v153
	v_add_f16_e32 v4, v4, v8
	v_sub_f16_e32 v2, v9, v2
	v_add_f16_e32 v0, v0, v10
	v_pack_b32_f16 v12, v12, v14
	v_sub_f16_e32 v8, v11, v13
	ds_store_2addr_b32 v170, v18, v133 offset1:1
	v_sub_f16_e32 v9, v15, v3
	v_pack_b32_f16 v0, v2, v0
	ds_store_2addr_b32 v170, v12, v6 offset0:2 offset1:3
	v_pack_b32_f16 v2, v4, v8
	v_sub_f16_e64 v4, v122, v129
	v_add_f16_e64 v6, v132, v125
	v_add_f16_e32 v8, v15, v3
	v_lshrrev_b32_e32 v3, 16, v3
	v_lshrrev_b32_e32 v10, 16, v5
	v_add_f16_e32 v11, v5, v7
	v_pack_b32_f16 v4, v4, v6
	ds_store_2addr_b32 v170, v2, v0 offset0:4 offset1:5
	ds_store_b32 v170, v4 offset:24
	v_lshrrev_b32_e32 v0, 16, v216
	v_add_f16_e64 v2, v216, v1
	v_sub_f16_e64 v4, v216, v1
	v_lshrrev_b32_e32 v1, 16, v1
	v_lshrrev_b32_e32 v6, 16, v15
	v_sub_f16_e32 v5, v7, v5
	v_lshrrev_b32_e32 v7, 16, v7
	v_lshrrev_b32_e32 v13, 16, v19
	v_sub_f16_e32 v15, v8, v11
	v_add_f16_e32 v12, v6, v3
	v_sub_f16_e32 v3, v6, v3
	v_add_f16_e32 v6, v0, v1
	;; [unrolled: 2-line block ×4, first 2 shown]
	v_add_f16_e32 v16, v6, v12
	v_add_f16_e32 v18, v5, v4
	v_sub_f16_e32 v17, v12, v1
	v_add_f16_e32 v74, v7, v0
	v_add_f16_e32 v10, v11, v10
	v_sub_f16_e32 v11, v11, v2
	v_add_f16_e32 v16, v1, v16
	v_sub_f16_e32 v1, v1, v6
	v_sub_f16_e32 v75, v7, v0
	v_add_f16_e32 v14, v19, v10
	v_sub_f16_e32 v19, v5, v4
	v_mul_f16_e32 v17, 0x3a52, v17
	v_sub_f16_e32 v4, v4, v9
	v_sub_f16_e32 v5, v9, v5
	;; [unrolled: 1-line block ×3, first 2 shown]
	v_mul_f16_e32 v19, 0x3846, v19
	v_add_f16_e32 v74, v74, v3
	v_mul_f16_e32 v75, 0x3846, v75
	v_add_f16_e32 v13, v13, v16
	v_fmamk_f16 v91, v1, 0x2b26, v17
	v_sub_f16_e32 v2, v2, v8
	v_sub_f16_e32 v6, v6, v12
	;; [unrolled: 1-line block ×3, first 2 shown]
	v_mul_f16_e32 v3, 0x2b26, v11
	v_mul_f16_e32 v1, 0x2b26, v1
	v_fma_f16 v8, v4, 0xbb00, -v19
	v_mul_f16_e32 v4, 0x3b00, v4
	v_add_f16_e32 v18, v18, v9
	v_mul_f16_e32 v15, 0x3a52, v15
	v_fmamk_f16 v10, v10, 0xbcab, v14
	v_fmamk_f16 v16, v16, 0xbcab, v13
	;; [unrolled: 1-line block ×3, first 2 shown]
	v_fma_f16 v3, v2, 0x39e0, -v3
	v_fma_f16 v1, v6, 0x39e0, -v1
	v_fmac_f16_e32 v4, 0x3574, v5
	v_fma_f16 v5, v0, 0xbb00, -v75
	v_mul_f16_e32 v0, 0x3b00, v0
	v_fma_f16 v2, v2, 0xb9e0, -v15
	v_fma_f16 v6, v6, 0xb9e0, -v17
	v_add_f16_e32 v3, v3, v10
	v_add_f16_e32 v1, v1, v16
	v_fmac_f16_e32 v0, 0x3574, v7
	v_fmac_f16_e32 v8, 0xb70e, v18
	;; [unrolled: 1-line block ×3, first 2 shown]
	v_fmamk_f16 v90, v11, 0x2b26, v15
	v_fmamk_f16 v114, v7, 0xb574, v75
	v_add_f16_e32 v2, v2, v10
	v_add_f16_e32 v6, v6, v16
	v_fmac_f16_e32 v4, 0xb70e, v18
	v_fmac_f16_e32 v0, 0xb70e, v74
	v_sub_f16_e32 v7, v3, v5
	v_add_f16_e32 v9, v8, v1
	v_add_f16_e32 v90, v90, v10
	;; [unrolled: 1-line block ×3, first 2 shown]
	v_fmac_f16_e32 v114, 0xb70e, v74
	v_fmac_f16_e32 v119, 0xb70e, v18
	v_pack_b32_f16 v7, v7, v9
	v_add_f16_e32 v9, v0, v2
	v_add_f16_e32 v3, v5, v3
	v_sub_f16_e32 v0, v2, v0
	v_add_f16_e32 v2, v4, v6
	v_sub_f16_e32 v1, v1, v8
	;; [unrolled: 2-line block ×3, first 2 shown]
	v_sub_f16_e32 v10, v6, v4
	v_pack_b32_f16 v0, v0, v2
	v_pack_b32_f16 v1, v3, v1
	v_sub_f16_e32 v2, v90, v114
	v_add_f16_e32 v3, v119, v91
	v_pack_b32_f16 v120, v120, v121
	v_pack_b32_f16 v13, v14, v13
	;; [unrolled: 1-line block ×3, first 2 shown]
	v_lshrrev_b32_e32 v4, 16, v41
	v_pack_b32_f16 v2, v2, v3
	v_lshrrev_b32_e32 v6, 16, v42
	ds_store_2addr_b32 v169, v13, v120 offset1:1
	ds_store_2addr_b32 v169, v9, v7 offset0:2 offset1:3
	ds_store_2addr_b32 v169, v1, v0 offset0:4 offset1:5
	ds_store_b32 v169, v2 offset:24
	s_waitcnt lgkmcnt(0)
	s_barrier
	buffer_gl0_inv
	ds_load_2addr_b32 v[0:1], v162 offset0:32 offset1:228
	v_lshrrev_b32_e32 v12, 16, v43
	v_lshrrev_b32_e32 v125, 16, v32
	s_waitcnt lgkmcnt(0)
	v_lshrrev_b32_e32 v2, 16, v0
	v_mul_f16_e32 v3, v4, v0
	s_delay_alu instid0(VALU_DEP_2) | instskip(NEXT) | instid1(VALU_DEP_2)
	v_mul_f16_e32 v7, v4, v2
	v_fma_f16 v8, v41, v2, -v3
	ds_load_2addr_b32 v[2:3], v194 offset0:56 offset1:252
	v_fmac_f16_e32 v7, v41, v0
	v_lshrrev_b32_e32 v0, 16, v1
	s_delay_alu instid0(VALU_DEP_1) | instskip(NEXT) | instid1(VALU_DEP_1)
	v_mul_f16_e64 v13, v154, v0
	v_fmac_f16_e32 v13, v50, v1
	v_mul_f16_e64 v1, v154, v1
	s_waitcnt lgkmcnt(0)
	v_lshrrev_b32_e32 v4, 16, v3
	v_mul_f16_e32 v5, v6, v3
	s_delay_alu instid0(VALU_DEP_3)
	v_fma_f16 v15, v50, v0, -v1
	ds_load_2addr_b32 v[0:1], v159 offset1:196
	v_mul_f16_e32 v9, v6, v4
	v_fma_f16 v10, v42, v4, -v5
	ds_load_2addr_b32 v[4:5], v134 offset0:24 offset1:220
	v_fmac_f16_e32 v9, v42, v3
	s_waitcnt lgkmcnt(0)
	v_lshrrev_b32_e32 v6, 16, v4
	v_mul_f16_e32 v11, v12, v4
	v_lshrrev_b32_e32 v3, 16, v5
	s_delay_alu instid0(VALU_DEP_3) | instskip(NEXT) | instid1(VALU_DEP_3)
	v_mul_f16_e32 v12, v12, v6
	v_fma_f16 v11, v43, v6, -v11
	v_mul_f16_e64 v6, v150, v0
	s_delay_alu instid0(VALU_DEP_3) | instskip(SKIP_1) | instid1(VALU_DEP_4)
	v_fmac_f16_e32 v12, v43, v4
	v_lshrrev_b32_e32 v4, 16, v52
	v_sub_f16_e32 v11, v8, v11
	s_delay_alu instid0(VALU_DEP_3) | instskip(NEXT) | instid1(VALU_DEP_3)
	v_sub_f16_e32 v12, v7, v12
	v_mul_f16_e32 v14, v4, v3
	v_mul_f16_e32 v4, v4, v5
	s_delay_alu instid0(VALU_DEP_4) | instskip(NEXT) | instid1(VALU_DEP_4)
	v_fma_f16 v8, v8, 2.0, -v11
	v_fma_f16 v7, v7, 2.0, -v12
	s_delay_alu instid0(VALU_DEP_4) | instskip(SKIP_4) | instid1(VALU_DEP_4)
	v_fmac_f16_e32 v14, v52, v5
	v_lshrrev_b32_e32 v5, 16, v0
	v_fma_f16 v18, v52, v3, -v4
	v_lshrrev_b32_e32 v3, 16, v1
	v_mul_f16_e64 v4, v138, v1
	v_mul_f16_e64 v16, v150, v5
	v_fma_f16 v17, v51, v5, -v6
	s_delay_alu instid0(VALU_DEP_4) | instskip(NEXT) | instid1(VALU_DEP_4)
	v_mul_f16_e64 v19, v138, v3
	v_fma_f16 v43, v174, v3, -v4
	ds_load_2addr_b32 v[3:4], v151 offset0:32 offset1:228
	v_fmac_f16_e32 v16, v51, v0
	v_fmac_f16_e64 v19, v174, v1
	ds_load_2addr_b32 v[0:1], v127 offset0:40 offset1:236
	s_waitcnt lgkmcnt(0)
	v_lshrrev_b32_e32 v5, 16, v0
	v_mul_f16_e32 v6, v115, v0
	s_delay_alu instid0(VALU_DEP_2) | instskip(NEXT) | instid1(VALU_DEP_2)
	v_mul_f16_e32 v41, v115, v5
	v_fma_f16 v42, v173, v5, -v6
	v_lshrrev_b32_e32 v5, 16, v3
	v_mul_f16_e32 v6, v123, v3
	s_delay_alu instid0(VALU_DEP_4) | instskip(SKIP_1) | instid1(VALU_DEP_4)
	v_fmac_f16_e64 v41, v173, v0
	v_lshrrev_b32_e32 v0, 16, v1
	v_mul_f16_e32 v50, v123, v5
	s_delay_alu instid0(VALU_DEP_4) | instskip(NEXT) | instid1(VALU_DEP_3)
	v_fma_f16 v51, v175, v5, -v6
	v_mul_f16_e64 v52, v199, v0
	s_delay_alu instid0(VALU_DEP_3) | instskip(SKIP_1) | instid1(VALU_DEP_3)
	v_fmac_f16_e64 v50, v175, v3
	v_lshrrev_b32_e32 v3, 16, v4
	v_fmac_f16_e32 v52, v116, v1
	v_mul_f16_e64 v1, v199, v1
	s_delay_alu instid0(VALU_DEP_3) | instskip(NEXT) | instid1(VALU_DEP_2)
	v_mul_f16_e64 v74, v197, v3
	v_fma_f16 v75, v116, v0, -v1
	ds_load_2addr_b32 v[0:1], v135 offset0:8 offset1:204
	v_fmac_f16_e32 v74, v118, v4
	v_mul_f16_e64 v4, v197, v4
	s_delay_alu instid0(VALU_DEP_1)
	v_fma_f16 v114, v118, v3, -v4
	s_waitcnt lgkmcnt(0)
	v_lshrrev_b32_e32 v5, 16, v0
	v_lshrrev_b32_e32 v3, 16, v1
	v_mul_f16_e64 v6, v198, v0
	v_mul_f16_e64 v4, v205, v1
	s_delay_alu instid0(VALU_DEP_4) | instskip(NEXT) | instid1(VALU_DEP_4)
	v_mul_f16_e64 v90, v198, v5
	v_mul_f16_e64 v115, v205, v3
	s_delay_alu instid0(VALU_DEP_4) | instskip(NEXT) | instid1(VALU_DEP_3)
	v_fma_f16 v91, v117, v5, -v6
	v_fmac_f16_e32 v90, v117, v0
	s_delay_alu instid0(VALU_DEP_3)
	v_fmac_f16_e32 v115, v39, v1
	ds_load_2addr_b32 v[0:1], v160 offset0:48 offset1:244
	v_fma_f16 v39, v39, v3, -v4
	ds_load_2addr_b32 v[3:4], v193 offset0:40 offset1:236
	s_waitcnt lgkmcnt(1)
	v_lshrrev_b32_e32 v5, 16, v0
	v_mul_f16_e64 v6, v207, v0
	s_delay_alu instid0(VALU_DEP_2) | instskip(NEXT) | instid1(VALU_DEP_2)
	v_mul_f16_e64 v116, v207, v5
	v_fma_f16 v117, v38, v5, -v6
	s_waitcnt lgkmcnt(0)
	v_lshrrev_b32_e32 v5, 16, v3
	v_mul_f16_e64 v6, v206, v3
	v_fmac_f16_e32 v116, v38, v0
	v_lshrrev_b32_e32 v0, 16, v1
	s_delay_alu instid0(VALU_DEP_4) | instskip(NEXT) | instid1(VALU_DEP_4)
	v_mul_f16_e64 v118, v206, v5
	v_fma_f16 v119, v40, v5, -v6
	s_delay_alu instid0(VALU_DEP_3) | instskip(NEXT) | instid1(VALU_DEP_3)
	v_mul_f16_e64 v38, v211, v0
	v_fmac_f16_e32 v118, v40, v3
	v_lshrrev_b32_e32 v3, 16, v4
	s_delay_alu instid0(VALU_DEP_3) | instskip(SKIP_1) | instid1(VALU_DEP_3)
	v_fmac_f16_e32 v38, v35, v1
	v_mul_f16_e64 v1, v211, v1
	v_mul_f16_e64 v40, v209, v3
	s_delay_alu instid0(VALU_DEP_2) | instskip(SKIP_3) | instid1(VALU_DEP_1)
	v_fma_f16 v35, v35, v0, -v1
	ds_load_2addr_b32 v[0:1], v157 offset0:16 offset1:212
	v_fmac_f16_e32 v40, v37, v4
	v_mul_f16_e64 v4, v209, v4
	v_fma_f16 v37, v37, v3, -v4
	v_lshrrev_b32_e32 v3, 16, v2
	s_waitcnt lgkmcnt(0)
	v_lshrrev_b32_e32 v5, 16, v0
	v_mul_f16_e64 v6, v208, v0
	s_delay_alu instid0(VALU_DEP_2) | instskip(NEXT) | instid1(VALU_DEP_2)
	v_mul_f16_e64 v120, v208, v5
	v_fma_f16 v121, v36, v5, -v6
	v_lshrrev_b32_e32 v5, 16, v1
	s_delay_alu instid0(VALU_DEP_3) | instskip(SKIP_1) | instid1(VALU_DEP_1)
	v_fmac_f16_e32 v120, v36, v0
	v_lshrrev_b32_e32 v0, 16, v33
	v_mul_f16_e32 v4, v0, v3
	s_delay_alu instid0(VALU_DEP_1) | instskip(SKIP_2) | instid1(VALU_DEP_2)
	v_fmac_f16_e32 v4, v33, v2
	v_mul_f16_e32 v2, v0, v2
	v_lshrrev_b32_e32 v0, 16, v34
	v_fma_f16 v3, v33, v3, -v2
	s_delay_alu instid0(VALU_DEP_2) | instskip(SKIP_1) | instid1(VALU_DEP_2)
	v_mul_f16_e32 v6, v0, v5
	v_mul_f16_e32 v36, v0, v1
	v_fmac_f16_e32 v6, v34, v1
	ds_load_2addr_b32 v[0:1], v128 offset0:24 offset1:220
	v_fma_f16 v5, v34, v5, -v36
	s_waitcnt lgkmcnt(0)
	v_lshrrev_b32_e32 v122, 16, v1
	v_mul_f16_e32 v123, v125, v1
	s_delay_alu instid0(VALU_DEP_2) | instskip(NEXT) | instid1(VALU_DEP_2)
	v_mul_f16_e32 v125, v125, v122
	v_fma_f16 v122, v32, v122, -v123
	s_delay_alu instid0(VALU_DEP_2) | instskip(SKIP_3) | instid1(VALU_DEP_2)
	v_fmac_f16_e32 v125, v32, v1
	ds_load_2addr_b32 v[1:2], v155 offset1:196
	v_sub_f16_e32 v5, v122, v5
	v_sub_f16_e32 v6, v125, v6
	v_fma_f16 v34, v122, 2.0, -v5
	s_delay_alu instid0(VALU_DEP_2) | instskip(SKIP_3) | instid1(VALU_DEP_2)
	v_fma_f16 v33, v125, 2.0, -v6
	s_waitcnt lgkmcnt(0)
	v_lshrrev_b32_e32 v32, 16, v1
	v_sub_f16_e32 v4, v1, v4
	v_sub_f16_e32 v3, v32, v3
	s_delay_alu instid0(VALU_DEP_2) | instskip(NEXT) | instid1(VALU_DEP_2)
	v_fma_f16 v1, v1, 2.0, -v4
	v_fma_f16 v32, v32, 2.0, -v3
	s_delay_alu instid0(VALU_DEP_2) | instskip(SKIP_1) | instid1(VALU_DEP_3)
	v_sub_f16_e32 v33, v1, v33
	v_sub_f16_e32 v36, v3, v6
	;; [unrolled: 1-line block ×3, first 2 shown]
	s_delay_alu instid0(VALU_DEP_3) | instskip(NEXT) | instid1(VALU_DEP_3)
	v_fma_f16 v1, v1, 2.0, -v33
	v_fma_f16 v3, v3, 2.0, -v36
	s_delay_alu instid0(VALU_DEP_3) | instskip(NEXT) | instid1(VALU_DEP_1)
	v_fma_f16 v32, v32, 2.0, -v34
	v_pack_b32_f16 v1, v1, v32
	v_add_f16_e32 v32, v4, v5
	s_delay_alu instid0(VALU_DEP_1) | instskip(SKIP_1) | instid1(VALU_DEP_2)
	v_fma_f16 v4, v4, 2.0, -v32
	v_pack_b32_f16 v32, v32, v36
	v_pack_b32_f16 v122, v4, v3
	ds_load_2addr_b32 v[3:4], v124 offset0:8 offset1:204
	ds_load_2addr_b32 v[5:6], v161 offset0:16 offset1:212
	s_waitcnt lgkmcnt(0)
	s_barrier
	buffer_gl0_inv
	scratch_load_b32 v123, off, off offset:144 ; 4-byte Folded Reload
	s_waitcnt vmcnt(0)
	ds_store_2addr_b32 v123, v1, v122 offset1:7
	v_pack_b32_f16 v1, v33, v34
	ds_store_2addr_b32 v123, v1, v32 offset0:14 offset1:21
	v_sub_f16_e32 v1, v2, v9
	v_lshrrev_b32_e32 v9, 16, v2
	s_delay_alu instid0(VALU_DEP_2) | instskip(NEXT) | instid1(VALU_DEP_2)
	v_fma_f16 v2, v2, 2.0, -v1
	v_sub_f16_e32 v10, v9, v10
	s_delay_alu instid0(VALU_DEP_2) | instskip(NEXT) | instid1(VALU_DEP_2)
	v_sub_f16_e32 v7, v2, v7
	v_fma_f16 v9, v9, 2.0, -v10
	s_delay_alu instid0(VALU_DEP_2) | instskip(NEXT) | instid1(VALU_DEP_2)
	v_fma_f16 v2, v2, 2.0, -v7
	v_sub_f16_e32 v8, v9, v8
	s_delay_alu instid0(VALU_DEP_1) | instskip(NEXT) | instid1(VALU_DEP_1)
	v_fma_f16 v9, v9, 2.0, -v8
	v_pack_b32_f16 v2, v2, v9
	v_add_f16_e32 v9, v1, v11
	v_sub_f16_e32 v11, v10, v12
	s_delay_alu instid0(VALU_DEP_2) | instskip(NEXT) | instid1(VALU_DEP_2)
	v_fma_f16 v1, v1, 2.0, -v9
	v_fma_f16 v10, v10, 2.0, -v11
	s_delay_alu instid0(VALU_DEP_1)
	v_pack_b32_f16 v1, v1, v10
	scratch_load_b32 v10, off, off offset:148 ; 4-byte Folded Reload
	s_waitcnt vmcnt(0)
	ds_store_2addr_b32 v10, v2, v1 offset1:7
	v_pack_b32_f16 v1, v7, v8
	v_pack_b32_f16 v2, v9, v11
	v_sub_f16_e32 v7, v13, v14
	v_sub_f16_e32 v8, v15, v18
	;; [unrolled: 1-line block ×3, first 2 shown]
	ds_store_2addr_b32 v10, v1, v2 offset0:14 offset1:21
	v_lshrrev_b32_e32 v1, 16, v3
	v_fma_f16 v10, v13, 2.0, -v7
	v_fma_f16 v11, v15, 2.0, -v8
	;; [unrolled: 1-line block ×3, first 2 shown]
	s_delay_alu instid0(VALU_DEP_4) | instskip(NEXT) | instid1(VALU_DEP_2)
	v_sub_f16_e32 v2, v1, v17
	v_sub_f16_e32 v10, v3, v10
	s_delay_alu instid0(VALU_DEP_2) | instskip(SKIP_1) | instid1(VALU_DEP_3)
	v_fma_f16 v1, v1, 2.0, -v2
	v_sub_f16_e32 v7, v2, v7
	v_fma_f16 v3, v3, 2.0, -v10
	s_delay_alu instid0(VALU_DEP_3) | instskip(NEXT) | instid1(VALU_DEP_3)
	v_sub_f16_e32 v11, v1, v11
	v_fma_f16 v2, v2, 2.0, -v7
	s_delay_alu instid0(VALU_DEP_2) | instskip(NEXT) | instid1(VALU_DEP_1)
	v_fma_f16 v1, v1, 2.0, -v11
	v_pack_b32_f16 v1, v3, v1
	v_add_f16_e32 v3, v9, v8
	s_delay_alu instid0(VALU_DEP_1) | instskip(NEXT) | instid1(VALU_DEP_1)
	v_fma_f16 v8, v9, 2.0, -v3
	v_pack_b32_f16 v2, v8, v2
	scratch_load_b32 v8, off, off offset:152 ; 4-byte Folded Reload
	s_waitcnt vmcnt(0)
	ds_store_2addr_b32 v8, v1, v2 offset1:7
	v_pack_b32_f16 v1, v10, v11
	v_pack_b32_f16 v2, v3, v7
	v_sub_f16_e32 v7, v41, v50
	ds_store_2addr_b32 v8, v1, v2 offset0:14 offset1:21
	v_sub_f16_e32 v1, v4, v19
	v_lshrrev_b32_e32 v2, 16, v4
	v_sub_f16_e32 v8, v42, v51
	v_fma_f16 v9, v41, 2.0, -v7
	s_delay_alu instid0(VALU_DEP_4) | instskip(NEXT) | instid1(VALU_DEP_4)
	v_fma_f16 v3, v4, 2.0, -v1
	v_sub_f16_e32 v4, v2, v43
	s_delay_alu instid0(VALU_DEP_4) | instskip(NEXT) | instid1(VALU_DEP_3)
	v_fma_f16 v10, v42, 2.0, -v8
	v_sub_f16_e32 v9, v3, v9
	s_delay_alu instid0(VALU_DEP_3) | instskip(SKIP_1) | instid1(VALU_DEP_3)
	v_fma_f16 v2, v2, 2.0, -v4
	v_sub_f16_e32 v7, v4, v7
	v_fma_f16 v3, v3, 2.0, -v9
	s_delay_alu instid0(VALU_DEP_3) | instskip(NEXT) | instid1(VALU_DEP_3)
	v_sub_f16_e32 v10, v2, v10
	v_fma_f16 v4, v4, 2.0, -v7
	s_delay_alu instid0(VALU_DEP_2) | instskip(NEXT) | instid1(VALU_DEP_1)
	v_fma_f16 v2, v2, 2.0, -v10
	v_pack_b32_f16 v2, v3, v2
	v_add_f16_e32 v3, v1, v8
	s_delay_alu instid0(VALU_DEP_1) | instskip(NEXT) | instid1(VALU_DEP_1)
	v_fma_f16 v1, v1, 2.0, -v3
	v_pack_b32_f16 v1, v1, v4
	scratch_load_b32 v4, off, off offset:156 ; 4-byte Folded Reload
	s_waitcnt vmcnt(0)
	ds_store_2addr_b32 v4, v2, v1 offset1:7
	v_pack_b32_f16 v1, v9, v10
	v_pack_b32_f16 v2, v3, v7
	v_sub_f16_e32 v3, v52, v74
	v_sub_f16_e32 v7, v5, v90
	ds_store_2addr_b32 v4, v1, v2 offset0:14 offset1:21
	v_lshrrev_b32_e32 v1, 16, v5
	v_sub_f16_e32 v4, v75, v114
	v_fma_f16 v8, v52, 2.0, -v3
	v_fma_f16 v5, v5, 2.0, -v7
	s_delay_alu instid0(VALU_DEP_4) | instskip(NEXT) | instid1(VALU_DEP_4)
	v_sub_f16_e32 v2, v1, v91
	v_fma_f16 v9, v75, 2.0, -v4
	v_add_f16_e32 v4, v7, v4
	s_delay_alu instid0(VALU_DEP_4) | instskip(NEXT) | instid1(VALU_DEP_4)
	v_sub_f16_e32 v8, v5, v8
	v_fma_f16 v1, v1, 2.0, -v2
	v_sub_f16_e32 v3, v2, v3
	s_delay_alu instid0(VALU_DEP_3) | instskip(NEXT) | instid1(VALU_DEP_3)
	v_fma_f16 v5, v5, 2.0, -v8
	v_sub_f16_e32 v9, v1, v9
	s_delay_alu instid0(VALU_DEP_3) | instskip(NEXT) | instid1(VALU_DEP_2)
	v_fma_f16 v2, v2, 2.0, -v3
	v_fma_f16 v1, v1, 2.0, -v9
	s_delay_alu instid0(VALU_DEP_1) | instskip(SKIP_1) | instid1(VALU_DEP_1)
	v_pack_b32_f16 v1, v5, v1
	v_fma_f16 v5, v7, 2.0, -v4
	v_pack_b32_f16 v2, v5, v2
	scratch_load_b32 v5, off, off offset:160 ; 4-byte Folded Reload
	s_waitcnt vmcnt(0)
	ds_store_2addr_b32 v5, v1, v2 offset1:7
	v_pack_b32_f16 v1, v8, v9
	v_pack_b32_f16 v2, v4, v3
	ds_store_2addr_b32 v5, v1, v2 offset0:14 offset1:21
	v_sub_f16_e32 v1, v6, v115
	v_lshrrev_b32_e32 v2, 16, v6
	v_sub_f16_e32 v5, v116, v118
	s_delay_alu instid0(VALU_DEP_3) | instskip(NEXT) | instid1(VALU_DEP_3)
	v_fma_f16 v3, v6, 2.0, -v1
	v_sub_f16_e32 v4, v2, v39
	v_sub_f16_e32 v6, v117, v119
	s_delay_alu instid0(VALU_DEP_4) | instskip(NEXT) | instid1(VALU_DEP_3)
	v_fma_f16 v7, v116, 2.0, -v5
	v_fma_f16 v2, v2, 2.0, -v4
	s_delay_alu instid0(VALU_DEP_3) | instskip(NEXT) | instid1(VALU_DEP_3)
	v_fma_f16 v8, v117, 2.0, -v6
	v_sub_f16_e32 v7, v3, v7
	v_sub_f16_e32 v5, v4, v5
	s_delay_alu instid0(VALU_DEP_3) | instskip(NEXT) | instid1(VALU_DEP_3)
	v_sub_f16_e32 v8, v2, v8
	v_fma_f16 v3, v3, 2.0, -v7
	s_delay_alu instid0(VALU_DEP_3) | instskip(NEXT) | instid1(VALU_DEP_3)
	v_fma_f16 v4, v4, 2.0, -v5
	v_fma_f16 v2, v2, 2.0, -v8
	s_delay_alu instid0(VALU_DEP_1) | instskip(SKIP_1) | instid1(VALU_DEP_1)
	v_pack_b32_f16 v2, v3, v2
	v_add_f16_e32 v3, v1, v6
	v_fma_f16 v1, v1, 2.0, -v3
	s_delay_alu instid0(VALU_DEP_1)
	v_pack_b32_f16 v1, v1, v4
	v_sub_f16_e32 v4, v38, v40
	ds_store_2addr_b32 v148, v2, v1 offset1:7
	v_pack_b32_f16 v1, v7, v8
	v_pack_b32_f16 v2, v3, v5
	v_sub_f16_e32 v5, v35, v37
	v_fma_f16 v6, v38, 2.0, -v4
	ds_store_2addr_b32 v148, v1, v2 offset0:14 offset1:21
	v_lshrrev_b32_e32 v2, 16, v0
	v_sub_f16_e32 v1, v0, v120
	v_fma_f16 v7, v35, 2.0, -v5
	s_delay_alu instid0(VALU_DEP_3) | instskip(NEXT) | instid1(VALU_DEP_3)
	v_sub_f16_e32 v3, v2, v121
	v_fma_f16 v0, v0, 2.0, -v1
	s_delay_alu instid0(VALU_DEP_2) | instskip(NEXT) | instid1(VALU_DEP_2)
	v_fma_f16 v2, v2, 2.0, -v3
	v_sub_f16_e32 v6, v0, v6
	v_sub_f16_e32 v4, v3, v4
	s_delay_alu instid0(VALU_DEP_3) | instskip(NEXT) | instid1(VALU_DEP_3)
	v_sub_f16_e32 v7, v2, v7
	v_fma_f16 v0, v0, 2.0, -v6
	s_delay_alu instid0(VALU_DEP_3) | instskip(NEXT) | instid1(VALU_DEP_3)
	v_fma_f16 v3, v3, 2.0, -v4
	v_fma_f16 v2, v2, 2.0, -v7
	s_delay_alu instid0(VALU_DEP_1) | instskip(SKIP_1) | instid1(VALU_DEP_1)
	v_pack_b32_f16 v0, v0, v2
	v_add_f16_e32 v2, v1, v5
	v_fma_f16 v1, v1, 2.0, -v2
	s_delay_alu instid0(VALU_DEP_1)
	v_pack_b32_f16 v1, v1, v3
	ds_store_2addr_b32 v143, v0, v1 offset1:7
	v_pack_b32_f16 v0, v6, v7
	v_pack_b32_f16 v1, v2, v4
	ds_store_2addr_b32 v143, v0, v1 offset0:14 offset1:21
	s_waitcnt lgkmcnt(0)
	s_barrier
	buffer_gl0_inv
	ds_load_2addr_b32 v[0:1], v161 offset0:16 offset1:212
	s_waitcnt lgkmcnt(0)
	v_lshrrev_b32_e32 v2, 16, v0
	v_mul_f16_e64 v3, v130, v0
	s_delay_alu instid0(VALU_DEP_2) | instskip(NEXT) | instid1(VALU_DEP_2)
	v_mul_f16_e64 v8, v130, v2
	v_fma_f16 v9, v241, v2, -v3
	ds_load_2addr_b32 v[2:3], v162 offset0:32 offset1:228
	v_fmac_f16_e64 v8, v241, v0
	v_lshrrev_b32_e32 v0, 16, v1
	s_delay_alu instid0(VALU_DEP_1) | instskip(NEXT) | instid1(VALU_DEP_1)
	v_mul_f16_e32 v36, v97, v0
	v_fmac_f16_e32 v36, v20, v1
	v_mul_f16_e32 v1, v97, v1
	s_waitcnt lgkmcnt(0)
	v_lshrrev_b32_e32 v4, 16, v2
	v_mul_f16_e64 v5, v202, v2
	s_delay_alu instid0(VALU_DEP_3)
	v_fma_f16 v43, v20, v0, -v1
	ds_load_2addr_b32 v[0:1], v128 offset0:24 offset1:220
	v_mul_f16_e64 v10, v202, v4
	v_fma_f16 v11, v242, v4, -v5
	ds_load_2addr_b32 v[4:5], v160 offset0:48 offset1:244
	v_fmac_f16_e64 v10, v242, v2
	v_lshrrev_b32_e32 v2, 16, v3
	s_delay_alu instid0(VALU_DEP_1) | instskip(NEXT) | instid1(VALU_DEP_1)
	v_mul_f16_e32 v37, v100, v2
	v_fmac_f16_e32 v37, v21, v3
	v_mul_f16_e32 v3, v100, v3
	s_waitcnt lgkmcnt(0)
	v_lshrrev_b32_e32 v6, 16, v4
	v_mul_f16_e64 v7, v204, v4
	s_delay_alu instid0(VALU_DEP_3)
	v_fma_f16 v42, v21, v2, -v3
	v_lshrrev_b32_e32 v2, 16, v0
	v_mul_f16_e32 v3, v111, v0
	v_mul_f16_e64 v50, v204, v6
	v_fma_f16 v51, v243, v6, -v7
	ds_load_2addr_b32 v[6:7], v159 offset1:196
	v_mul_f16_e32 v21, v111, v2
	v_fma_f16 v20, v178, v2, -v3
	ds_load_2addr_b32 v[2:3], v127 offset0:40 offset1:236
	v_fmac_f16_e64 v50, v243, v4
	v_lshrrev_b32_e32 v4, 16, v5
	v_fmac_f16_e64 v21, v178, v0
	s_delay_alu instid0(VALU_DEP_2) | instskip(NEXT) | instid1(VALU_DEP_1)
	v_mul_f16_e32 v38, v102, v4
	v_fmac_f16_e32 v38, v22, v5
	v_mul_f16_e32 v5, v102, v5
	s_waitcnt lgkmcnt(1)
	v_lshrrev_b32_e32 v12, 16, v6
	v_mul_f16_e64 v13, v203, v6
	s_delay_alu instid0(VALU_DEP_3)
	v_fma_f16 v40, v22, v4, -v5
	s_waitcnt lgkmcnt(0)
	v_lshrrev_b32_e32 v4, 16, v2
	v_mul_f16_e32 v5, v112, v2
	v_mul_f16_e64 v52, v203, v12
	v_fma_f16 v74, v244, v12, -v13
	v_mul_f16_e32 v12, v101, v7
	s_delay_alu instid0(VALU_DEP_4) | instskip(NEXT) | instid1(VALU_DEP_4)
	v_fma_f16 v22, v179, v4, -v5
	v_fmac_f16_e64 v52, v244, v6
	v_lshrrev_b32_e32 v6, 16, v7
	s_delay_alu instid0(VALU_DEP_1) | instskip(SKIP_1) | instid1(VALU_DEP_2)
	v_mul_f16_e32 v39, v101, v6
	v_fma_f16 v41, v23, v6, -v12
	v_fmac_f16_e32 v39, v23, v7
	v_mul_f16_e32 v23, v112, v4
	ds_load_2addr_b32 v[4:5], v194 offset0:56 offset1:252
	v_fmac_f16_e64 v23, v179, v2
	s_waitcnt lgkmcnt(0)
	v_lshrrev_b32_e32 v6, 16, v4
	v_mul_f16_e64 v7, v142, v4
	v_lshrrev_b32_e32 v14, 16, v5
	s_delay_alu instid0(VALU_DEP_3) | instskip(NEXT) | instid1(VALU_DEP_3)
	v_mul_f16_e64 v33, v142, v6
	v_fma_f16 v32, v180, v6, -v7
	ds_load_2addr_b32 v[6:7], v135 offset0:8 offset1:204
	v_mul_f16_e64 v2, v165, v14
	v_fmac_f16_e64 v33, v180, v4
	v_lshrrev_b32_e32 v4, 16, v1
	s_delay_alu instid0(VALU_DEP_3) | instskip(SKIP_1) | instid1(VALU_DEP_3)
	v_fmac_f16_e32 v2, v46, v5
	v_mul_f16_e64 v5, v165, v5
	v_mul_f16_e64 v0, v167, v4
	s_delay_alu instid0(VALU_DEP_1)
	v_fmac_f16_e32 v0, v44, v1
	s_waitcnt lgkmcnt(0)
	v_lshrrev_b32_e32 v12, 16, v6
	v_mul_f16_e64 v13, v131, v6
	v_lshrrev_b32_e32 v15, 16, v7
	v_mul_f16_e64 v18, v164, v7
	s_delay_alu instid0(VALU_DEP_4) | instskip(NEXT) | instid1(VALU_DEP_4)
	v_mul_f16_e64 v35, v131, v12
	v_fma_f16 v34, v181, v12, -v13
	v_lshrrev_b32_e32 v12, 16, v3
	v_mul_f16_e64 v13, v212, v3
	s_delay_alu instid0(VALU_DEP_4) | instskip(SKIP_1) | instid1(VALU_DEP_4)
	v_fmac_f16_e64 v35, v181, v6
	v_mul_f16_e64 v6, v167, v1
	v_mul_f16_e64 v1, v212, v12
	s_delay_alu instid0(VALU_DEP_4)
	v_fma_f16 v16, v45, v12, -v13
	v_fma_f16 v12, v46, v14, -v5
	;; [unrolled: 1-line block ×4, first 2 shown]
	ds_load_2addr_b32 v[4:5], v157 offset0:16 offset1:212
	v_fmac_f16_e32 v1, v45, v3
	v_mul_f16_e64 v3, v164, v15
	v_lshrrev_b32_e32 v18, 16, v73
	s_delay_alu instid0(VALU_DEP_2) | instskip(SKIP_3) | instid1(VALU_DEP_2)
	v_fmac_f16_e32 v3, v47, v7
	s_waitcnt lgkmcnt(0)
	v_lshrrev_b32_e32 v6, 16, v4
	v_mul_f16_e32 v7, v109, v4
	v_mul_f16_e32 v75, v109, v6
	s_delay_alu instid0(VALU_DEP_2) | instskip(SKIP_3) | instid1(VALU_DEP_1)
	v_fma_f16 v90, v72, v6, -v7
	ds_load_2addr_b32 v[6:7], v151 offset0:32 offset1:228
	v_fmac_f16_e32 v75, v72, v4
	v_lshrrev_b32_e32 v4, 16, v5
	v_mul_f16_e64 v72, v236, v4
	s_delay_alu instid0(VALU_DEP_1) | instskip(SKIP_3) | instid1(VALU_DEP_2)
	v_fmac_f16_e32 v72, v84, v5
	v_mul_f16_e64 v5, v236, v5
	s_waitcnt lgkmcnt(0)
	v_lshrrev_b32_e32 v14, 16, v6
	v_fma_f16 v84, v84, v4, -v5
	ds_load_2addr_b32 v[4:5], v134 offset0:24 offset1:220
	v_mul_f16_e32 v15, v18, v6
	v_mul_f16_e32 v91, v18, v14
	s_delay_alu instid0(VALU_DEP_2) | instskip(SKIP_1) | instid1(VALU_DEP_3)
	v_fma_f16 v97, v73, v14, -v15
	v_mul_f16_e64 v14, v237, v7
	v_fmac_f16_e32 v91, v73, v6
	v_lshrrev_b32_e32 v6, 16, v7
	s_delay_alu instid0(VALU_DEP_1) | instskip(NEXT) | instid1(VALU_DEP_1)
	v_mul_f16_e64 v73, v237, v6
	v_fmac_f16_e32 v73, v85, v7
	v_fma_f16 v85, v85, v6, -v14
	s_waitcnt lgkmcnt(0)
	v_lshrrev_b32_e32 v6, 16, v4
	v_mul_f16_e64 v7, v249, v4
	s_delay_alu instid0(VALU_DEP_2) | instskip(NEXT) | instid1(VALU_DEP_2)
	v_mul_f16_e64 v45, v249, v6
	v_fma_f16 v44, v82, v6, -v7
	ds_load_2addr_b32 v[6:7], v193 offset0:40 offset1:236
	v_fmac_f16_e32 v45, v82, v4
	v_lshrrev_b32_e32 v4, 16, v5
	v_add_f16_e32 v82, v10, v75
	v_sub_f16_e32 v10, v10, v75
	v_add_f16_e32 v75, v11, v90
	v_sub_f16_e32 v11, v11, v90
	s_waitcnt lgkmcnt(0)
	v_lshrrev_b32_e32 v14, 16, v6
	v_mul_f16_e64 v15, v245, v6
	v_mul_f16_e64 v19, v147, v7
	s_delay_alu instid0(VALU_DEP_3) | instskip(NEXT) | instid1(VALU_DEP_3)
	v_mul_f16_e64 v47, v245, v14
	v_fma_f16 v46, v83, v14, -v15
	v_mul_f16_e64 v14, v163, v4
	s_delay_alu instid0(VALU_DEP_3) | instskip(SKIP_1) | instid1(VALU_DEP_3)
	v_fmac_f16_e32 v47, v83, v6
	v_lshrrev_b32_e32 v6, 16, v7
	v_fmac_f16_e32 v14, v80, v5
	v_mul_f16_e64 v5, v163, v5
	s_delay_alu instid0(VALU_DEP_3) | instskip(SKIP_1) | instid1(VALU_DEP_3)
	v_mul_f16_e64 v18, v147, v6
	v_fma_f16 v19, v81, v6, -v19
	v_fma_f16 v15, v80, v4, -v5
	v_add_f16_e32 v80, v8, v91
	v_add_f16_e32 v6, v50, v52
	v_fmac_f16_e32 v18, v81, v7
	v_add_f16_e32 v81, v9, v97
	v_sub_f16_e32 v7, v52, v50
	v_add_f16_e32 v4, v82, v80
	v_add_f16_e32 v50, v51, v74
	v_sub_f16_e32 v51, v74, v51
	v_sub_f16_e32 v8, v8, v91
	;; [unrolled: 1-line block ×3, first 2 shown]
	v_add_f16_e32 v52, v6, v4
	v_add_f16_e32 v4, v75, v81
	v_sub_f16_e32 v90, v6, v82
	v_sub_f16_e32 v97, v7, v10
	v_sub_f16_e32 v101, v51, v11
	v_add_f16_e32 v91, v7, v10
	v_add_f16_e32 v74, v50, v4
	ds_load_2addr_b32 v[4:5], v155 offset1:196
	v_sub_f16_e32 v100, v8, v7
	v_add_f16_e32 v7, v51, v11
	v_sub_f16_e32 v51, v9, v51
	v_mul_f16_e32 v97, 0x3846, v97
	v_mul_f16_e32 v101, 0x3846, v101
	v_add_f16_e32 v91, v91, v8
	v_add_f16_e32 v102, v7, v9
	v_sub_f16_e32 v8, v10, v8
	v_fmamk_f16 v115, v100, 0xb574, v97
	v_fmamk_f16 v114, v51, 0xb574, v101
	v_sub_f16_e32 v9, v11, v9
	v_mul_f16_e32 v10, 0x2b26, v90
	s_delay_alu instid0(VALU_DEP_4) | instskip(NEXT) | instid1(VALU_DEP_4)
	v_fmac_f16_e32 v115, 0xb70e, v91
	v_fmac_f16_e32 v114, 0xb70e, v102
	s_waitcnt lgkmcnt(0)
	v_lshrrev_b32_e32 v83, 16, v4
	v_add_f16_e32 v4, v4, v52
	s_delay_alu instid0(VALU_DEP_2) | instskip(NEXT) | instid1(VALU_DEP_2)
	v_add_f16_e32 v83, v83, v74
	v_fmamk_f16 v52, v52, 0xbcab, v4
	s_delay_alu instid0(VALU_DEP_2)
	v_fmamk_f16 v74, v74, 0xbcab, v83
	v_pack_b32_f16 v4, v4, v83
	v_sub_f16_e32 v83, v80, v6
	v_sub_f16_e32 v6, v81, v50
	;; [unrolled: 1-line block ×4, first 2 shown]
	s_delay_alu instid0(VALU_DEP_4) | instskip(NEXT) | instid1(VALU_DEP_4)
	v_mul_f16_e32 v83, 0x3a52, v83
	v_mul_f16_e32 v109, 0x3a52, v6
	s_delay_alu instid0(VALU_DEP_4) | instskip(NEXT) | instid1(VALU_DEP_3)
	v_mul_f16_e32 v11, 0x2b26, v50
	v_fmamk_f16 v6, v90, 0x2b26, v83
	s_delay_alu instid0(VALU_DEP_2) | instskip(NEXT) | instid1(VALU_DEP_2)
	v_fma_f16 v11, v75, 0x39e0, -v11
	v_add_f16_e32 v111, v6, v52
	v_fmamk_f16 v6, v50, 0x2b26, v109
	v_fma_f16 v50, v75, 0xb9e0, -v109
	v_fma_f16 v75, v8, 0xbb00, -v97
	v_mul_f16_e32 v8, 0x3b00, v8
	v_add_f16_e32 v11, v11, v74
	v_add_f16_e32 v112, v6, v74
	;; [unrolled: 1-line block ×4, first 2 shown]
	v_fmac_f16_e32 v8, 0x3574, v100
	v_fmac_f16_e32 v75, 0xb70e, v91
	v_sub_f16_e32 v7, v112, v115
	s_delay_alu instid0(VALU_DEP_3) | instskip(NEXT) | instid1(VALU_DEP_3)
	v_fmac_f16_e32 v8, 0xb70e, v91
	v_add_f16_e32 v74, v75, v11
	s_delay_alu instid0(VALU_DEP_3)
	v_pack_b32_f16 v116, v6, v7
	ds_load_2addr_b32 v[6:7], v124 offset0:8 offset1:204
	s_waitcnt lgkmcnt(0)
	s_barrier
	buffer_gl0_inv
	ds_store_2addr_b32 v185, v4, v116 offset1:28
	v_sub_f16_e32 v4, v82, v80
	v_fma_f16 v80, v9, 0xbb00, -v101
	v_mul_f16_e32 v9, 0x3b00, v9
	v_sub_f16_e32 v11, v11, v75
	s_delay_alu instid0(VALU_DEP_4) | instskip(SKIP_1) | instid1(VALU_DEP_4)
	v_fma_f16 v10, v4, 0x39e0, -v10
	v_fma_f16 v4, v4, 0xb9e0, -v83
	v_fmac_f16_e32 v9, 0x3574, v51
	v_fmac_f16_e32 v80, 0xb70e, v102
	s_delay_alu instid0(VALU_DEP_4) | instskip(NEXT) | instid1(VALU_DEP_4)
	v_add_f16_e32 v10, v10, v52
	v_add_f16_e32 v4, v4, v52
	s_delay_alu instid0(VALU_DEP_4) | instskip(SKIP_3) | instid1(VALU_DEP_4)
	v_fmac_f16_e32 v9, 0xb70e, v102
	v_sub_f16_e32 v52, v50, v8
	v_add_f16_e32 v8, v8, v50
	v_lshrrev_b32_e32 v50, 16, v5
	v_add_f16_e32 v51, v9, v4
	v_sub_f16_e32 v4, v4, v9
	s_delay_alu instid0(VALU_DEP_2) | instskip(SKIP_2) | instid1(VALU_DEP_4)
	v_pack_b32_f16 v51, v51, v52
	v_sub_f16_e32 v52, v10, v80
	v_add_f16_e32 v10, v80, v10
	v_pack_b32_f16 v4, v4, v8
	v_add_f16_e32 v8, v115, v112
	s_delay_alu instid0(VALU_DEP_4) | instskip(NEXT) | instid1(VALU_DEP_4)
	v_pack_b32_f16 v52, v52, v74
	v_pack_b32_f16 v9, v10, v11
	v_add_f16_e32 v11, v37, v72
	v_sub_f16_e32 v10, v43, v85
	ds_store_2addr_b32 v185, v51, v52 offset0:56 offset1:84
	ds_store_2addr_b32 v185, v9, v4 offset0:112 offset1:140
	v_sub_f16_e32 v4, v111, v114
	v_add_f16_e32 v9, v43, v85
	v_add_f16_e32 v43, v38, v39
	v_sub_f16_e32 v38, v39, v38
	v_add_f16_e32 v39, v40, v41
	v_pack_b32_f16 v4, v4, v8
	v_sub_f16_e32 v8, v36, v73
	v_sub_f16_e32 v40, v41, v40
	s_delay_alu instid0(VALU_DEP_4)
	v_sub_f16_e32 v52, v9, v39
	ds_store_b32 v185, v4 offset:672
	v_add_f16_e32 v4, v36, v73
	v_sub_f16_e32 v36, v37, v72
	v_add_f16_e32 v37, v42, v84
	v_sub_f16_e32 v42, v42, v84
	v_mul_f16_e32 v52, 0x3a52, v52
	v_add_f16_e32 v41, v11, v4
	v_sub_f16_e32 v73, v38, v36
	v_add_f16_e32 v51, v37, v9
	v_sub_f16_e32 v75, v40, v42
	v_add_f16_e32 v72, v38, v36
	v_add_f16_e32 v41, v43, v41
	v_sub_f16_e32 v38, v8, v38
	v_add_f16_e32 v51, v39, v51
	v_sub_f16_e32 v39, v39, v37
	v_add_f16_e32 v74, v40, v42
	v_add_f16_e32 v5, v5, v41
	v_sub_f16_e32 v40, v10, v40
	v_add_f16_e32 v50, v50, v51
	v_mul_f16_e32 v73, 0x3846, v73
	v_mul_f16_e32 v75, 0x3846, v75
	v_fmamk_f16 v41, v41, 0xbcab, v5
	v_add_f16_e32 v72, v72, v8
	v_fmamk_f16 v51, v51, 0xbcab, v50
	v_pack_b32_f16 v5, v5, v50
	v_sub_f16_e32 v50, v4, v43
	v_sub_f16_e32 v43, v43, v11
	v_add_f16_e32 v74, v74, v10
	v_fmamk_f16 v81, v39, 0x2b26, v52
	v_fmamk_f16 v82, v40, 0xb574, v75
	v_mul_f16_e32 v50, 0x3a52, v50
	v_fmamk_f16 v83, v38, 0xb574, v73
	v_sub_f16_e32 v8, v36, v8
	v_add_f16_e32 v81, v81, v51
	v_fmac_f16_e32 v82, 0xb70e, v74
	v_fmamk_f16 v80, v43, 0x2b26, v50
	v_fmac_f16_e32 v83, 0xb70e, v72
	v_sub_f16_e32 v4, v11, v4
	v_mul_f16_e32 v11, 0x2b26, v39
	v_fma_f16 v36, v8, 0xbb00, -v73
	v_add_f16_e32 v80, v80, v41
	v_sub_f16_e32 v85, v81, v83
	v_mul_f16_e32 v8, 0x3b00, v8
	s_delay_alu instid0(VALU_DEP_4) | instskip(NEXT) | instid1(VALU_DEP_4)
	v_fmac_f16_e32 v36, 0xb70e, v72
	v_add_f16_e32 v84, v82, v80
	s_delay_alu instid0(VALU_DEP_3) | instskip(NEXT) | instid1(VALU_DEP_2)
	v_fmac_f16_e32 v8, 0x3574, v38
	v_pack_b32_f16 v84, v84, v85
	s_delay_alu instid0(VALU_DEP_2) | instskip(SKIP_4) | instid1(VALU_DEP_3)
	v_fmac_f16_e32 v8, 0xb70e, v72
	ds_store_2addr_b32 v196, v5, v84 offset1:28
	v_sub_f16_e32 v5, v37, v9
	v_sub_f16_e32 v9, v42, v10
	v_mul_f16_e32 v10, 0x2b26, v43
	v_fma_f16 v11, v5, 0x39e0, -v11
	s_delay_alu instid0(VALU_DEP_3) | instskip(SKIP_1) | instid1(VALU_DEP_4)
	v_fma_f16 v37, v9, 0xbb00, -v75
	v_mul_f16_e32 v9, 0x3b00, v9
	v_fma_f16 v10, v4, 0x39e0, -v10
	v_fma_f16 v4, v4, 0xb9e0, -v50
	;; [unrolled: 1-line block ×3, first 2 shown]
	v_add_f16_e32 v11, v11, v51
	v_fmac_f16_e32 v9, 0x3574, v40
	v_add_f16_e32 v10, v10, v41
	v_add_f16_e32 v4, v4, v41
	;; [unrolled: 1-line block ×3, first 2 shown]
	v_fmac_f16_e32 v37, 0xb70e, v74
	v_fmac_f16_e32 v9, 0xb70e, v74
	v_add_f16_e32 v40, v36, v11
	v_sub_f16_e32 v11, v11, v36
	v_sub_f16_e32 v39, v5, v8
	v_add_f16_e32 v5, v8, v5
	v_add_f16_e32 v38, v9, v4
	v_sub_f16_e32 v4, v4, v9
	v_sub_f16_e32 v9, v20, v46
	v_lshrrev_b32_e32 v36, 16, v6
	s_delay_alu instid0(VALU_DEP_4) | instskip(SKIP_4) | instid1(VALU_DEP_4)
	v_pack_b32_f16 v38, v38, v39
	v_sub_f16_e32 v39, v10, v37
	v_add_f16_e32 v10, v37, v10
	v_pack_b32_f16 v4, v4, v5
	v_add_f16_e32 v5, v83, v81
	v_pack_b32_f16 v39, v39, v40
	s_delay_alu instid0(VALU_DEP_4)
	v_pack_b32_f16 v8, v10, v11
	v_add_f16_e32 v10, v23, v45
	v_sub_f16_e32 v11, v23, v45
	v_sub_f16_e32 v23, v35, v33
	ds_store_2addr_b32 v196, v38, v39 offset0:56 offset1:84
	ds_store_2addr_b32 v196, v8, v4 offset0:112 offset1:140
	v_sub_f16_e32 v4, v80, v82
	v_add_f16_e32 v8, v20, v46
	v_add_f16_e32 v20, v22, v44
	v_sub_f16_e32 v39, v23, v11
	v_add_f16_e32 v38, v23, v11
	v_pack_b32_f16 v4, v4, v5
	v_sub_f16_e32 v5, v21, v47
	s_delay_alu instid0(VALU_DEP_4)
	v_mul_f16_e32 v39, 0x3846, v39
	ds_store_b32 v196, v4 offset:672
	v_add_f16_e32 v4, v21, v47
	v_sub_f16_e32 v21, v22, v44
	v_add_f16_e32 v22, v33, v35
	v_add_f16_e32 v33, v32, v34
	v_sub_f16_e32 v32, v34, v32
	v_add_f16_e32 v34, v10, v4
	v_add_f16_e32 v35, v20, v8
	v_sub_f16_e32 v23, v5, v23
	v_sub_f16_e32 v37, v8, v33
	;; [unrolled: 1-line block ×3, first 2 shown]
	v_add_f16_e32 v34, v22, v34
	v_add_f16_e32 v35, v33, v35
	v_sub_f16_e32 v33, v33, v20
	v_add_f16_e32 v40, v32, v21
	v_sub_f16_e32 v32, v9, v32
	v_add_f16_e32 v6, v6, v34
	v_add_f16_e32 v36, v36, v35
	v_mul_f16_e32 v37, 0x3a52, v37
	v_mul_f16_e32 v41, 0x3846, v41
	v_add_f16_e32 v38, v38, v5
	v_fmamk_f16 v34, v34, 0xbcab, v6
	v_fmamk_f16 v35, v35, 0xbcab, v36
	v_pack_b32_f16 v6, v6, v36
	v_sub_f16_e32 v36, v4, v22
	v_sub_f16_e32 v22, v22, v10
	v_add_f16_e32 v40, v40, v9
	v_fmamk_f16 v43, v33, 0x2b26, v37
	v_fmamk_f16 v44, v32, 0xb574, v41
	v_mul_f16_e32 v36, 0x3a52, v36
	v_fmamk_f16 v45, v23, 0xb574, v39
	v_sub_f16_e32 v5, v11, v5
	v_add_f16_e32 v43, v43, v35
	v_fmac_f16_e32 v44, 0xb70e, v40
	v_fmamk_f16 v42, v22, 0x2b26, v36
	v_fmac_f16_e32 v45, 0xb70e, v38
	v_sub_f16_e32 v4, v10, v4
	v_mul_f16_e32 v10, 0x2b26, v33
	v_fma_f16 v11, v5, 0xbb00, -v39
	v_add_f16_e32 v42, v42, v34
	v_sub_f16_e32 v47, v43, v45
	v_mul_f16_e32 v5, 0x3b00, v5
	s_delay_alu instid0(VALU_DEP_4) | instskip(NEXT) | instid1(VALU_DEP_4)
	v_fmac_f16_e32 v11, 0xb70e, v38
	v_add_f16_e32 v46, v44, v42
	s_delay_alu instid0(VALU_DEP_3) | instskip(NEXT) | instid1(VALU_DEP_2)
	v_fmac_f16_e32 v5, 0x3574, v23
	v_pack_b32_f16 v46, v46, v47
	s_delay_alu instid0(VALU_DEP_2) | instskip(SKIP_4) | instid1(VALU_DEP_3)
	v_fmac_f16_e32 v5, 0xb70e, v38
	ds_store_2addr_b32 v200, v6, v46 offset1:28
	v_sub_f16_e32 v6, v20, v8
	v_sub_f16_e32 v8, v21, v9
	v_mul_f16_e32 v9, 0x2b26, v22
	v_fma_f16 v10, v6, 0x39e0, -v10
	s_delay_alu instid0(VALU_DEP_3) | instskip(SKIP_1) | instid1(VALU_DEP_4)
	v_fma_f16 v20, v8, 0xbb00, -v41
	v_mul_f16_e32 v8, 0x3b00, v8
	v_fma_f16 v9, v4, 0x39e0, -v9
	v_fma_f16 v4, v4, 0xb9e0, -v36
	v_fma_f16 v6, v6, 0xb9e0, -v37
	v_add_f16_e32 v10, v10, v35
	v_fmac_f16_e32 v8, 0x3574, v32
	v_add_f16_e32 v9, v9, v34
	v_add_f16_e32 v4, v4, v34
	;; [unrolled: 1-line block ×3, first 2 shown]
	v_fmac_f16_e32 v20, 0xb70e, v40
	v_fmac_f16_e32 v8, 0xb70e, v40
	v_add_f16_e32 v23, v11, v10
	v_sub_f16_e32 v10, v10, v11
	v_sub_f16_e32 v22, v6, v5
	v_add_f16_e32 v5, v5, v6
	v_add_f16_e32 v21, v8, v4
	v_sub_f16_e32 v4, v4, v8
	v_add_f16_e32 v8, v1, v14
	v_add_f16_e32 v11, v2, v3
	v_sub_f16_e32 v2, v3, v2
	v_pack_b32_f16 v21, v21, v22
	v_sub_f16_e32 v22, v9, v20
	v_add_f16_e32 v9, v20, v9
	v_pack_b32_f16 v4, v4, v5
	v_add_f16_e32 v5, v45, v43
	v_add_f16_e32 v3, v12, v13
	v_sub_f16_e32 v12, v13, v12
	v_pack_b32_f16 v6, v9, v10
	v_add_f16_e32 v9, v16, v15
	v_sub_f16_e32 v10, v16, v15
	v_sub_f16_e32 v1, v1, v14
	v_lshrrev_b32_e32 v14, 16, v7
	ds_store_2addr_b32 v200, v6, v4 offset0:112 offset1:140
	v_sub_f16_e32 v4, v42, v44
	v_sub_f16_e32 v6, v17, v19
	;; [unrolled: 1-line block ×3, first 2 shown]
	v_pack_b32_f16 v22, v22, v23
	s_delay_alu instid0(VALU_DEP_4)
	v_pack_b32_f16 v4, v4, v5
	v_add_f16_e32 v5, v17, v19
	v_add_f16_e32 v17, v2, v1
	;; [unrolled: 1-line block ×3, first 2 shown]
	v_sub_f16_e32 v12, v6, v12
	ds_store_b32 v200, v4 offset:672
	v_add_f16_e32 v4, v0, v18
	v_add_f16_e32 v15, v9, v5
	v_sub_f16_e32 v0, v0, v18
	v_sub_f16_e32 v16, v5, v3
	;; [unrolled: 1-line block ×3, first 2 shown]
	v_add_f16_e32 v13, v8, v4
	v_add_f16_e32 v15, v3, v15
	v_sub_f16_e32 v3, v3, v9
	v_sub_f16_e32 v2, v0, v2
	v_mul_f16_e32 v16, 0x3a52, v16
	v_add_f16_e32 v13, v11, v13
	v_add_f16_e32 v14, v14, v15
	v_mul_f16_e32 v18, 0x3846, v18
	v_mul_f16_e32 v20, 0x3846, v20
	ds_store_2addr_b32 v200, v21, v22 offset0:56 offset1:84
	v_add_f16_e32 v7, v7, v13
	v_fmamk_f16 v15, v15, 0xbcab, v14
	v_add_f16_e32 v17, v17, v0
	v_add_f16_e32 v19, v19, v6
	v_fmamk_f16 v22, v3, 0x2b26, v16
	v_fmamk_f16 v13, v13, 0xbcab, v7
	v_pack_b32_f16 v7, v7, v14
	v_sub_f16_e32 v14, v4, v11
	v_sub_f16_e32 v11, v11, v8
	v_fmamk_f16 v23, v12, 0xb574, v20
	v_fmamk_f16 v32, v2, 0xb574, v18
	v_add_f16_e32 v22, v22, v15
	v_mul_f16_e32 v14, 0x3a52, v14
	v_sub_f16_e32 v0, v1, v0
	v_fmac_f16_e32 v23, 0xb70e, v19
	v_fmac_f16_e32 v32, 0xb70e, v17
	v_sub_f16_e32 v1, v10, v6
	v_fmamk_f16 v21, v11, 0x2b26, v14
	v_sub_f16_e32 v4, v8, v4
	v_sub_f16_e32 v5, v9, v5
	;; [unrolled: 1-line block ×3, first 2 shown]
	v_mul_f16_e32 v6, 0x2b26, v11
	v_add_f16_e32 v21, v21, v13
	v_mul_f16_e32 v3, 0x2b26, v3
	s_delay_alu instid0(VALU_DEP_3) | instskip(NEXT) | instid1(VALU_DEP_3)
	v_fma_f16 v6, v4, 0x39e0, -v6
	v_add_f16_e32 v33, v23, v21
	v_fma_f16 v4, v4, 0xb9e0, -v14
	s_delay_alu instid0(VALU_DEP_4)
	v_fma_f16 v3, v5, 0x39e0, -v3
	v_fma_f16 v5, v5, 0xb9e0, -v16
	v_add_f16_e32 v6, v6, v13
	v_pack_b32_f16 v33, v33, v34
	v_add_f16_e32 v4, v4, v13
	v_add_f16_e32 v3, v3, v15
	;; [unrolled: 1-line block ×3, first 2 shown]
	ds_store_2addr_b32 v201, v7, v33 offset1:28
	v_fma_f16 v7, v0, 0xbb00, -v18
	v_mul_f16_e32 v0, 0x3b00, v0
	s_delay_alu instid0(VALU_DEP_2) | instskip(NEXT) | instid1(VALU_DEP_2)
	v_fmac_f16_e32 v7, 0xb70e, v17
	v_fmac_f16_e32 v0, 0x3574, v2
	v_fma_f16 v2, v1, 0xbb00, -v20
	v_mul_f16_e32 v1, 0x3b00, v1
	s_delay_alu instid0(VALU_DEP_4) | instskip(NEXT) | instid1(VALU_DEP_4)
	v_add_f16_e32 v10, v7, v3
	v_fmac_f16_e32 v0, 0xb70e, v17
	s_delay_alu instid0(VALU_DEP_4) | instskip(NEXT) | instid1(VALU_DEP_4)
	v_fmac_f16_e32 v2, 0xb70e, v19
	v_fmac_f16_e32 v1, 0x3574, v12
	v_sub_f16_e32 v3, v3, v7
	s_delay_alu instid0(VALU_DEP_4) | instskip(SKIP_1) | instid1(VALU_DEP_4)
	v_sub_f16_e32 v9, v5, v0
	v_add_f16_e32 v0, v0, v5
	v_fmac_f16_e32 v1, 0xb70e, v19
	s_delay_alu instid0(VALU_DEP_1) | instskip(SKIP_1) | instid1(VALU_DEP_2)
	v_add_f16_e32 v8, v1, v4
	v_sub_f16_e32 v1, v4, v1
	v_pack_b32_f16 v8, v8, v9
	v_sub_f16_e32 v9, v6, v2
	v_add_f16_e32 v2, v2, v6
	s_delay_alu instid0(VALU_DEP_4) | instskip(SKIP_1) | instid1(VALU_DEP_4)
	v_pack_b32_f16 v0, v1, v0
	v_add_f16_e32 v1, v32, v22
	v_pack_b32_f16 v9, v9, v10
	s_delay_alu instid0(VALU_DEP_4) | instskip(SKIP_3) | instid1(VALU_DEP_1)
	v_pack_b32_f16 v2, v2, v3
	ds_store_2addr_b32 v201, v8, v9 offset0:56 offset1:84
	ds_store_2addr_b32 v201, v2, v0 offset0:112 offset1:140
	v_sub_f16_e32 v0, v21, v23
	v_pack_b32_f16 v0, v0, v1
	ds_store_b32 v201, v0 offset:672
	s_waitcnt lgkmcnt(0)
	s_barrier
	buffer_gl0_inv
	ds_load_2addr_b32 v[0:1], v162 offset0:32 offset1:228
	s_waitcnt lgkmcnt(0)
	v_lshrrev_b32_e32 v2, 16, v1
	v_mul_f16_e64 v3, v239, v1
	s_delay_alu instid0(VALU_DEP_2) | instskip(NEXT) | instid1(VALU_DEP_2)
	v_mul_f16_e64 v7, v239, v2
	v_fma_f16 v8, v62, v2, -v3
	ds_load_2addr_b32 v[2:3], v159 offset1:196
	v_fmac_f16_e32 v7, v62, v1
	s_waitcnt lgkmcnt(0)
	v_lshrrev_b32_e32 v4, 16, v2
	v_mul_f16_e64 v5, v240, v2
	s_delay_alu instid0(VALU_DEP_2) | instskip(NEXT) | instid1(VALU_DEP_2)
	v_mul_f16_e64 v9, v240, v4
	v_fma_f16 v10, v63, v4, -v5
	ds_load_2addr_b32 v[4:5], v134 offset0:24 offset1:220
	v_fmac_f16_e32 v9, v63, v2
	ds_load_2addr_b32 v[1:2], v127 offset0:40 offset1:236
	s_waitcnt lgkmcnt(1)
	v_lshrrev_b32_e32 v6, 16, v5
	v_mul_f16_e64 v11, v238, v5
	v_lshrrev_b32_e32 v52, 16, v4
	s_waitcnt lgkmcnt(0)
	v_mul_f16_e64 v14, v248, v1
	v_mul_f16_e64 v12, v238, v6
	v_fma_f16 v11, v64, v6, -v11
	v_lshrrev_b32_e32 v6, 16, v1
	s_delay_alu instid0(VALU_DEP_3) | instskip(SKIP_1) | instid1(VALU_DEP_3)
	v_fmac_f16_e32 v12, v64, v5
	v_lshrrev_b32_e32 v5, 16, v3
	v_mul_f16_e64 v15, v248, v6
	v_fma_f16 v14, v68, v6, -v14
	v_sub_f16_e32 v11, v8, v11
	s_delay_alu instid0(VALU_DEP_4) | instskip(NEXT) | instid1(VALU_DEP_4)
	v_mul_f16_e64 v13, v246, v5
	v_fmac_f16_e32 v15, v68, v1
	v_lshrrev_b32_e32 v1, 16, v2
	s_delay_alu instid0(VALU_DEP_4) | instskip(NEXT) | instid1(VALU_DEP_4)
	v_fma_f16 v8, v8, 2.0, -v11
	v_fmac_f16_e32 v13, v69, v3
	v_mul_f16_e64 v3, v246, v3
	s_delay_alu instid0(VALU_DEP_4) | instskip(NEXT) | instid1(VALU_DEP_2)
	v_mul_f16_e64 v19, v252, v1
	v_fma_f16 v16, v69, v5, -v3
	ds_load_2addr_b32 v[5:6], v151 offset0:32 offset1:228
	v_fmac_f16_e32 v19, v65, v2
	v_mul_f16_e64 v2, v252, v2
	s_delay_alu instid0(VALU_DEP_1) | instskip(SKIP_4) | instid1(VALU_DEP_2)
	v_fma_f16 v21, v65, v1, -v2
	ds_load_2addr_b32 v[1:2], v135 offset0:8 offset1:204
	s_waitcnt lgkmcnt(1)
	v_lshrrev_b32_e32 v3, 16, v5
	v_mul_f16_e64 v17, v247, v5
	v_mul_f16_e64 v18, v247, v3
	s_delay_alu instid0(VALU_DEP_2)
	v_fma_f16 v17, v70, v3, -v17
	v_lshrrev_b32_e32 v3, 16, v6
	s_waitcnt lgkmcnt(0)
	v_mul_f16_e64 v22, v251, v1
	v_fmac_f16_e32 v18, v70, v5
	v_mul_f16_e64 v5, v250, v6
	v_mul_f16_e64 v20, v250, v3
	s_delay_alu instid0(VALU_DEP_2) | instskip(NEXT) | instid1(VALU_DEP_2)
	v_fma_f16 v32, v67, v3, -v5
	v_fmac_f16_e32 v20, v67, v6
	v_lshrrev_b32_e32 v6, 16, v1
	v_lshrrev_b32_e32 v3, 16, v2
	v_mul_f16_e64 v5, v253, v2
	s_delay_alu instid0(VALU_DEP_3) | instskip(NEXT) | instid1(VALU_DEP_3)
	v_mul_f16_e64 v23, v251, v6
	v_mul_f16_e64 v33, v253, v3
	v_fma_f16 v22, v66, v6, -v22
	s_delay_alu instid0(VALU_DEP_4) | instskip(NEXT) | instid1(VALU_DEP_4)
	v_fma_f16 v36, v60, v3, -v5
	v_fmac_f16_e32 v23, v66, v1
	s_delay_alu instid0(VALU_DEP_4) | instskip(SKIP_4) | instid1(VALU_DEP_2)
	v_fmac_f16_e32 v33, v60, v2
	ds_load_2addr_b32 v[1:2], v160 offset0:48 offset1:244
	s_waitcnt lgkmcnt(0)
	v_lshrrev_b32_e32 v6, 16, v1
	v_mul_f16_e64 v34, v255, v1
	v_mul_f16_e64 v35, v255, v6
	s_delay_alu instid0(VALU_DEP_2) | instskip(SKIP_4) | instid1(VALU_DEP_2)
	v_fma_f16 v34, v59, v6, -v34
	ds_load_2addr_b32 v[5:6], v193 offset0:40 offset1:236
	v_fmac_f16_e32 v35, v59, v1
	v_lshrrev_b32_e32 v1, 16, v2
	v_mul_f16_e64 v59, v225, v0
	v_mul_f16_e32 v39, v110, v1
	s_delay_alu instid0(VALU_DEP_1) | instskip(SKIP_1) | instid1(VALU_DEP_1)
	v_fmac_f16_e32 v39, v56, v2
	v_mul_f16_e32 v2, v110, v2
	v_fma_f16 v41, v56, v1, -v2
	ds_load_2addr_b32 v[1:2], v157 offset0:16 offset1:212
	s_waitcnt lgkmcnt(1)
	v_lshrrev_b32_e32 v3, 16, v5
	v_mul_f16_e64 v37, v254, v5
	v_mul_f16_e64 v56, v226, v52
	s_delay_alu instid0(VALU_DEP_3) | instskip(NEXT) | instid1(VALU_DEP_3)
	v_mul_f16_e64 v38, v254, v3
	v_fma_f16 v37, v61, v3, -v37
	v_lshrrev_b32_e32 v3, 16, v6
	s_delay_alu instid0(VALU_DEP_4) | instskip(SKIP_4) | instid1(VALU_DEP_4)
	v_fmac_f16_e32 v56, v55, v4
	v_mul_f16_e64 v4, v226, v4
	v_fmac_f16_e32 v38, v61, v5
	v_mul_f16_e32 v5, v98, v6
	v_mul_f16_e32 v40, v98, v3
	v_fma_f16 v52, v55, v52, -v4
	s_delay_alu instid0(VALU_DEP_3) | instskip(NEXT) | instid1(VALU_DEP_3)
	v_fma_f16 v44, v58, v3, -v5
	v_fmac_f16_e32 v40, v58, v6
	s_waitcnt lgkmcnt(0)
	v_lshrrev_b32_e32 v6, 16, v1
	v_mul_f16_e32 v42, v71, v1
	v_lshrrev_b32_e32 v50, 16, v2
	s_delay_alu instid0(VALU_DEP_3) | instskip(NEXT) | instid1(VALU_DEP_3)
	v_mul_f16_e32 v43, v71, v6
	v_fma_f16 v42, v57, v6, -v42
	ds_load_2addr_b32 v[5:6], v194 offset0:56 offset1:252
	v_mul_f16_e64 v51, v226, v50
	v_fmac_f16_e32 v43, v57, v1
	v_lshrrev_b32_e32 v57, 16, v0
	s_delay_alu instid0(VALU_DEP_3) | instskip(SKIP_1) | instid1(VALU_DEP_3)
	v_fmac_f16_e32 v51, v55, v2
	v_mul_f16_e64 v2, v226, v2
	v_mul_f16_e64 v58, v225, v57
	s_delay_alu instid0(VALU_DEP_1) | instskip(SKIP_4) | instid1(VALU_DEP_2)
	v_fmac_f16_e32 v58, v53, v0
	ds_load_2addr_b32 v[0:1], v128 offset0:24 offset1:220
	s_waitcnt lgkmcnt(1)
	v_lshrrev_b32_e32 v3, 16, v5
	v_lshrrev_b32_e32 v46, 16, v6
	v_mul_f16_e64 v45, v227, v3
	s_delay_alu instid0(VALU_DEP_2) | instskip(NEXT) | instid1(VALU_DEP_2)
	v_mul_f16_e64 v47, v227, v46
	v_fmac_f16_e32 v45, v54, v5
	v_mul_f16_e64 v5, v227, v5
	s_delay_alu instid0(VALU_DEP_3)
	v_fmac_f16_e32 v47, v54, v6
	v_mul_f16_e64 v6, v227, v6
	s_waitcnt lgkmcnt(0)
	v_lshrrev_b32_e32 v60, 16, v1
	v_mul_f16_e64 v61, v225, v1
	v_fma_f16 v3, v54, v3, -v5
	v_fma_f16 v5, v55, v50, -v2
	;; [unrolled: 1-line block ×3, first 2 shown]
	v_mul_f16_e64 v62, v225, v60
	v_fma_f16 v60, v53, v60, -v61
	v_fma_f16 v50, v53, v57, -v59
	s_delay_alu instid0(VALU_DEP_3) | instskip(SKIP_3) | instid1(VALU_DEP_2)
	v_fmac_f16_e32 v62, v53, v1
	ds_load_2addr_b32 v[1:2], v155 offset1:196
	v_sub_f16_e32 v5, v60, v5
	v_sub_f16_e32 v6, v62, v51
	v_fma_f16 v53, v60, 2.0, -v5
	s_delay_alu instid0(VALU_DEP_2) | instskip(SKIP_3) | instid1(VALU_DEP_2)
	v_fma_f16 v51, v62, 2.0, -v6
	s_waitcnt lgkmcnt(0)
	v_lshrrev_b32_e32 v4, 16, v1
	v_sub_f16_e32 v45, v1, v45
	v_sub_f16_e32 v3, v4, v3
	s_delay_alu instid0(VALU_DEP_2) | instskip(SKIP_1) | instid1(VALU_DEP_3)
	v_fma_f16 v1, v1, 2.0, -v45
	v_add_f16_e32 v54, v45, v5
	v_fma_f16 v4, v4, 2.0, -v3
	s_delay_alu instid0(VALU_DEP_3) | instskip(SKIP_1) | instid1(VALU_DEP_3)
	v_sub_f16_e32 v51, v1, v51
	v_sub_f16_e32 v55, v3, v6
	;; [unrolled: 1-line block ×3, first 2 shown]
	s_delay_alu instid0(VALU_DEP_3) | instskip(NEXT) | instid1(VALU_DEP_3)
	v_fma_f16 v1, v1, 2.0, -v51
	v_fma_f16 v3, v3, 2.0, -v55
	s_delay_alu instid0(VALU_DEP_3) | instskip(NEXT) | instid1(VALU_DEP_1)
	v_fma_f16 v4, v4, 2.0, -v53
	v_pack_b32_f16 v1, v1, v4
	v_fma_f16 v4, v45, 2.0, -v54
	s_delay_alu instid0(VALU_DEP_1)
	v_pack_b32_f16 v45, v4, v3
	ds_load_2addr_b32 v[3:4], v124 offset0:8 offset1:204
	ds_load_2addr_b32 v[5:6], v161 offset0:16 offset1:212
	s_waitcnt lgkmcnt(0)
	s_barrier
	buffer_gl0_inv
	ds_store_2addr_b32 v155, v1, v45 offset1:196
	v_pack_b32_f16 v1, v51, v53
	v_pack_b32_f16 v45, v54, v55
	v_sub_f16_e32 v51, v50, v52
	ds_store_2addr_b32 v124, v1, v45 offset0:8 offset1:204
	v_lshrrev_b32_e32 v45, 16, v2
	v_sub_f16_e32 v1, v2, v47
	v_sub_f16_e32 v47, v58, v56
	v_fma_f16 v50, v50, 2.0, -v51
	s_delay_alu instid0(VALU_DEP_4) | instskip(NEXT) | instid1(VALU_DEP_4)
	v_sub_f16_e32 v46, v45, v46
	v_fma_f16 v2, v2, 2.0, -v1
	s_delay_alu instid0(VALU_DEP_4) | instskip(SKIP_1) | instid1(VALU_DEP_4)
	v_fma_f16 v52, v58, 2.0, -v47
	v_sub_f16_e32 v9, v3, v9
	v_fma_f16 v45, v45, 2.0, -v46
	v_sub_f16_e32 v47, v46, v47
	s_delay_alu instid0(VALU_DEP_4) | instskip(NEXT) | instid1(VALU_DEP_3)
	v_sub_f16_e32 v52, v2, v52
	v_sub_f16_e32 v50, v45, v50
	s_delay_alu instid0(VALU_DEP_3) | instskip(NEXT) | instid1(VALU_DEP_3)
	v_fma_f16 v46, v46, 2.0, -v47
	v_fma_f16 v2, v2, 2.0, -v52
	s_delay_alu instid0(VALU_DEP_3) | instskip(NEXT) | instid1(VALU_DEP_1)
	v_fma_f16 v45, v45, 2.0, -v50
	v_pack_b32_f16 v2, v2, v45
	v_add_f16_e32 v45, v1, v51
	s_delay_alu instid0(VALU_DEP_1) | instskip(NEXT) | instid1(VALU_DEP_1)
	v_fma_f16 v1, v1, 2.0, -v45
	v_pack_b32_f16 v1, v1, v46
	ds_store_2addr_b32 v161, v2, v1 offset0:16 offset1:212
	v_pack_b32_f16 v1, v52, v50
	v_pack_b32_f16 v2, v45, v47
	ds_store_2addr_b32 v128, v1, v2 offset0:24 offset1:220
	v_lshrrev_b32_e32 v1, 16, v3
	v_fma_f16 v3, v3, 2.0, -v9
	s_delay_alu instid0(VALU_DEP_2) | instskip(SKIP_1) | instid1(VALU_DEP_2)
	v_sub_f16_e32 v2, v1, v10
	v_sub_f16_e32 v10, v7, v12
	v_fma_f16 v1, v1, 2.0, -v2
	s_delay_alu instid0(VALU_DEP_2) | instskip(SKIP_1) | instid1(VALU_DEP_3)
	v_fma_f16 v7, v7, 2.0, -v10
	v_sub_f16_e32 v10, v2, v10
	v_sub_f16_e32 v8, v1, v8
	s_delay_alu instid0(VALU_DEP_3) | instskip(NEXT) | instid1(VALU_DEP_3)
	v_sub_f16_e32 v7, v3, v7
	v_fma_f16 v2, v2, 2.0, -v10
	s_delay_alu instid0(VALU_DEP_3) | instskip(NEXT) | instid1(VALU_DEP_3)
	v_fma_f16 v1, v1, 2.0, -v8
	v_fma_f16 v3, v3, 2.0, -v7
	s_delay_alu instid0(VALU_DEP_1) | instskip(SKIP_1) | instid1(VALU_DEP_1)
	v_pack_b32_f16 v1, v3, v1
	v_add_f16_e32 v3, v9, v11
	v_fma_f16 v9, v9, 2.0, -v3
	s_delay_alu instid0(VALU_DEP_1)
	v_pack_b32_f16 v2, v9, v2
	scratch_load_b32 v9, off, off offset:192 ; 4-byte Folded Reload
	s_waitcnt vmcnt(0)
	ds_store_2addr_b32 v9, v1, v2 offset0:32 offset1:228
	v_pack_b32_f16 v2, v3, v10
	scratch_load_b32 v3, off, off offset:164 ; 4-byte Folded Reload
	v_pack_b32_f16 v1, v7, v8
	v_sub_f16_e32 v7, v15, v18
	v_sub_f16_e32 v8, v14, v17
	s_delay_alu instid0(VALU_DEP_2) | instskip(NEXT) | instid1(VALU_DEP_2)
	v_fma_f16 v9, v15, 2.0, -v7
	v_fma_f16 v10, v14, 2.0, -v8
	s_waitcnt vmcnt(0)
	ds_store_2addr_b32 v3, v1, v2 offset0:40 offset1:236
	v_sub_f16_e32 v1, v4, v13
	v_lshrrev_b32_e32 v2, 16, v4
	s_delay_alu instid0(VALU_DEP_2) | instskip(NEXT) | instid1(VALU_DEP_2)
	v_fma_f16 v3, v4, 2.0, -v1
	v_sub_f16_e32 v4, v2, v16
	s_delay_alu instid0(VALU_DEP_2) | instskip(NEXT) | instid1(VALU_DEP_2)
	v_sub_f16_e32 v9, v3, v9
	v_fma_f16 v2, v2, 2.0, -v4
	v_sub_f16_e32 v7, v4, v7
	s_delay_alu instid0(VALU_DEP_3) | instskip(NEXT) | instid1(VALU_DEP_3)
	v_fma_f16 v3, v3, 2.0, -v9
	v_sub_f16_e32 v10, v2, v10
	s_delay_alu instid0(VALU_DEP_3) | instskip(NEXT) | instid1(VALU_DEP_2)
	v_fma_f16 v4, v4, 2.0, -v7
	v_fma_f16 v2, v2, 2.0, -v10
	s_delay_alu instid0(VALU_DEP_1) | instskip(SKIP_1) | instid1(VALU_DEP_1)
	v_pack_b32_f16 v2, v3, v2
	v_add_f16_e32 v3, v1, v8
	v_fma_f16 v1, v1, 2.0, -v3
	s_delay_alu instid0(VALU_DEP_1)
	v_pack_b32_f16 v1, v1, v4
	scratch_load_b32 v4, off, off offset:168 ; 4-byte Folded Reload
	s_waitcnt vmcnt(0)
	ds_store_2addr_b32 v4, v2, v1 offset0:48 offset1:244
	v_pack_b32_f16 v2, v3, v7
	scratch_load_b32 v3, off, off offset:172 ; 4-byte Folded Reload
	v_pack_b32_f16 v1, v9, v10
	v_sub_f16_e32 v4, v21, v32
	v_sub_f16_e32 v7, v5, v23
	s_delay_alu instid0(VALU_DEP_2) | instskip(NEXT) | instid1(VALU_DEP_2)
	v_fma_f16 v9, v21, 2.0, -v4
	v_add_f16_e32 v4, v7, v4
	s_waitcnt vmcnt(0)
	ds_store_2addr_b32 v3, v1, v2 offset0:56 offset1:252
	v_lshrrev_b32_e32 v1, 16, v5
	v_sub_f16_e32 v3, v19, v20
	v_fma_f16 v5, v5, 2.0, -v7
	s_delay_alu instid0(VALU_DEP_3) | instskip(NEXT) | instid1(VALU_DEP_3)
	v_sub_f16_e32 v2, v1, v22
	v_fma_f16 v8, v19, 2.0, -v3
	s_delay_alu instid0(VALU_DEP_2) | instskip(NEXT) | instid1(VALU_DEP_2)
	v_fma_f16 v1, v1, 2.0, -v2
	v_sub_f16_e32 v8, v5, v8
	v_sub_f16_e32 v3, v2, v3
	s_delay_alu instid0(VALU_DEP_3) | instskip(NEXT) | instid1(VALU_DEP_3)
	v_sub_f16_e32 v9, v1, v9
	v_fma_f16 v5, v5, 2.0, -v8
	s_delay_alu instid0(VALU_DEP_3) | instskip(NEXT) | instid1(VALU_DEP_3)
	v_fma_f16 v2, v2, 2.0, -v3
	v_fma_f16 v1, v1, 2.0, -v9
	s_delay_alu instid0(VALU_DEP_1) | instskip(SKIP_1) | instid1(VALU_DEP_1)
	v_pack_b32_f16 v1, v5, v1
	v_fma_f16 v5, v7, 2.0, -v4
	v_pack_b32_f16 v2, v5, v2
	scratch_load_b32 v5, off, off offset:180 ; 4-byte Folded Reload
	s_waitcnt vmcnt(0)
	ds_store_2addr_b32 v5, v1, v2 offset1:196
	v_pack_b32_f16 v2, v4, v3
	scratch_load_b32 v3, off, off offset:176 ; 4-byte Folded Reload
	v_pack_b32_f16 v1, v8, v9
	v_sub_f16_e32 v5, v35, v38
	s_delay_alu instid0(VALU_DEP_1) | instskip(SKIP_4) | instid1(VALU_DEP_2)
	v_fma_f16 v7, v35, 2.0, -v5
	s_waitcnt vmcnt(0)
	ds_store_2addr_b32 v3, v1, v2 offset0:8 offset1:204
	v_sub_f16_e32 v1, v6, v33
	v_lshrrev_b32_e32 v2, 16, v6
	v_fma_f16 v3, v6, 2.0, -v1
	s_delay_alu instid0(VALU_DEP_2) | instskip(SKIP_1) | instid1(VALU_DEP_3)
	v_sub_f16_e32 v4, v2, v36
	v_sub_f16_e32 v6, v34, v37
	;; [unrolled: 1-line block ×3, first 2 shown]
	s_delay_alu instid0(VALU_DEP_3) | instskip(NEXT) | instid1(VALU_DEP_3)
	v_fma_f16 v2, v2, 2.0, -v4
	v_fma_f16 v8, v34, 2.0, -v6
	v_sub_f16_e32 v5, v4, v5
	s_delay_alu instid0(VALU_DEP_4) | instskip(NEXT) | instid1(VALU_DEP_3)
	v_fma_f16 v3, v3, 2.0, -v7
	v_sub_f16_e32 v8, v2, v8
	s_delay_alu instid0(VALU_DEP_3) | instskip(NEXT) | instid1(VALU_DEP_2)
	v_fma_f16 v4, v4, 2.0, -v5
	v_fma_f16 v2, v2, 2.0, -v8
	s_delay_alu instid0(VALU_DEP_1) | instskip(SKIP_1) | instid1(VALU_DEP_1)
	v_pack_b32_f16 v2, v3, v2
	v_add_f16_e32 v3, v1, v6
	v_fma_f16 v1, v1, 2.0, -v3
	s_delay_alu instid0(VALU_DEP_1)
	v_pack_b32_f16 v1, v1, v4
	scratch_load_b32 v4, off, off offset:184 ; 4-byte Folded Reload
	s_waitcnt vmcnt(0)
	ds_store_2addr_b32 v4, v2, v1 offset0:16 offset1:212
	v_pack_b32_f16 v2, v3, v5
	scratch_load_b32 v3, off, off offset:188 ; 4-byte Folded Reload
	v_pack_b32_f16 v1, v7, v8
	v_sub_f16_e32 v4, v39, v40
	v_sub_f16_e32 v5, v41, v44
	s_delay_alu instid0(VALU_DEP_2) | instskip(NEXT) | instid1(VALU_DEP_2)
	v_fma_f16 v6, v39, 2.0, -v4
	v_fma_f16 v7, v41, 2.0, -v5
	s_waitcnt vmcnt(0)
	ds_store_2addr_b32 v3, v1, v2 offset0:24 offset1:220
	v_lshrrev_b32_e32 v2, 16, v0
	v_sub_f16_e32 v1, v0, v43
	s_delay_alu instid0(VALU_DEP_2) | instskip(NEXT) | instid1(VALU_DEP_2)
	v_sub_f16_e32 v3, v2, v42
	v_fma_f16 v0, v0, 2.0, -v1
	s_delay_alu instid0(VALU_DEP_2) | instskip(NEXT) | instid1(VALU_DEP_2)
	v_fma_f16 v2, v2, 2.0, -v3
	v_sub_f16_e32 v6, v0, v6
	v_sub_f16_e32 v4, v3, v4
	s_delay_alu instid0(VALU_DEP_3) | instskip(NEXT) | instid1(VALU_DEP_3)
	v_sub_f16_e32 v7, v2, v7
	v_fma_f16 v0, v0, 2.0, -v6
	s_delay_alu instid0(VALU_DEP_3) | instskip(NEXT) | instid1(VALU_DEP_3)
	v_fma_f16 v3, v3, 2.0, -v4
	v_fma_f16 v2, v2, 2.0, -v7
	s_delay_alu instid0(VALU_DEP_1) | instskip(SKIP_1) | instid1(VALU_DEP_1)
	v_pack_b32_f16 v0, v0, v2
	v_add_f16_e32 v2, v1, v5
	v_fma_f16 v1, v1, 2.0, -v2
	s_delay_alu instid0(VALU_DEP_1)
	v_pack_b32_f16 v1, v1, v3
	scratch_load_b32 v3, off, off offset:196 ; 4-byte Folded Reload
	s_waitcnt vmcnt(0)
	ds_store_2addr_b32 v3, v0, v1 offset0:32 offset1:228
	v_pack_b32_f16 v1, v2, v4
	scratch_load_b32 v2, off, off offset:200 ; 4-byte Folded Reload
	v_pack_b32_f16 v0, v6, v7
	s_waitcnt vmcnt(0)
	ds_store_2addr_b32 v2, v0, v1 offset0:40 offset1:236
	s_waitcnt lgkmcnt(0)
	s_barrier
	buffer_gl0_inv
	ds_load_2addr_b32 v[0:1], v161 offset0:16 offset1:212
	s_waitcnt lgkmcnt(0)
	v_lshrrev_b32_e32 v2, 16, v0
	v_mul_f16_e64 v3, v232, v0
	s_delay_alu instid0(VALU_DEP_2) | instskip(NEXT) | instid1(VALU_DEP_2)
	v_mul_f16_e64 v38, v232, v2
	v_fma_f16 v39, v218, v2, -v3
	ds_load_2addr_b32 v[2:3], v162 offset0:32 offset1:228
	v_fmac_f16_e64 v38, v218, v0
	v_lshrrev_b32_e32 v0, 16, v1
	s_delay_alu instid0(VALU_DEP_1) | instskip(NEXT) | instid1(VALU_DEP_1)
	v_mul_f16_e32 v12, v104, v0
	v_fmac_f16_e64 v12, v228, v1
	v_mul_f16_e32 v1, v104, v1
	s_waitcnt lgkmcnt(0)
	v_lshrrev_b32_e32 v4, 16, v2
	v_mul_f16_e64 v5, v233, v2
	s_delay_alu instid0(VALU_DEP_3)
	v_fma_f16 v18, v228, v0, -v1
	ds_load_2addr_b32 v[0:1], v128 offset0:24 offset1:220
	v_mul_f16_e64 v40, v233, v4
	v_fma_f16 v41, v219, v4, -v5
	ds_load_2addr_b32 v[4:5], v160 offset0:48 offset1:244
	v_fmac_f16_e64 v40, v219, v2
	v_lshrrev_b32_e32 v2, 16, v3
	s_delay_alu instid0(VALU_DEP_1) | instskip(NEXT) | instid1(VALU_DEP_1)
	v_mul_f16_e32 v13, v108, v2
	v_fmac_f16_e64 v13, v229, v3
	v_mul_f16_e32 v3, v108, v3
	s_waitcnt lgkmcnt(0)
	v_lshrrev_b32_e32 v6, 16, v4
	v_mul_f16_e64 v7, v234, v4
	s_delay_alu instid0(VALU_DEP_3)
	v_fma_f16 v19, v229, v2, -v3
	v_lshrrev_b32_e32 v2, 16, v0
	v_mul_f16_e64 v3, v214, v0
	v_mul_f16_e64 v42, v234, v6
	v_fma_f16 v43, v220, v6, -v7
	ds_load_2addr_b32 v[6:7], v159 offset1:196
	v_mul_f16_e64 v22, v214, v2
	v_fma_f16 v23, v24, v2, -v3
	v_fmac_f16_e64 v42, v220, v4
	v_lshrrev_b32_e32 v4, 16, v5
	s_delay_alu instid0(VALU_DEP_4) | instskip(SKIP_1) | instid1(VALU_DEP_3)
	v_fmac_f16_e32 v22, v24, v0
	v_lshrrev_b32_e32 v0, 16, v1
	v_mul_f16_e32 v16, v103, v4
	s_delay_alu instid0(VALU_DEP_1) | instskip(SKIP_1) | instid1(VALU_DEP_1)
	v_fmac_f16_e64 v16, v230, v5
	v_mul_f16_e32 v5, v103, v5
	v_fma_f16 v20, v230, v4, -v5
	ds_load_2addr_b32 v[3:4], v127 offset0:40 offset1:236
	s_waitcnt lgkmcnt(1)
	v_lshrrev_b32_e32 v8, 16, v6
	v_mul_f16_e64 v9, v235, v6
	s_delay_alu instid0(VALU_DEP_2) | instskip(NEXT) | instid1(VALU_DEP_2)
	v_mul_f16_e64 v44, v235, v8
	v_fma_f16 v45, v221, v8, -v9
	v_mul_f16_e32 v8, v107, v7
	s_delay_alu instid0(VALU_DEP_3) | instskip(SKIP_1) | instid1(VALU_DEP_1)
	v_fmac_f16_e64 v44, v221, v6
	v_lshrrev_b32_e32 v6, 16, v7
	v_mul_f16_e32 v17, v107, v6
	s_delay_alu instid0(VALU_DEP_4) | instskip(SKIP_4) | instid1(VALU_DEP_3)
	v_fma_f16 v21, v231, v6, -v8
	s_waitcnt lgkmcnt(0)
	v_lshrrev_b32_e32 v2, 16, v3
	v_mul_f16_e32 v5, v113, v3
	v_fmac_f16_e64 v17, v231, v7
	v_mul_f16_e32 v32, v113, v2
	s_delay_alu instid0(VALU_DEP_3)
	v_fma_f16 v33, v25, v2, -v5
	ds_load_2addr_b32 v[5:6], v194 offset0:56 offset1:252
	v_fmac_f16_e32 v32, v25, v3
	s_waitcnt lgkmcnt(0)
	v_lshrrev_b32_e32 v2, 16, v5
	v_mul_f16_e64 v7, v222, v5
	v_lshrrev_b32_e32 v10, 16, v6
	v_mul_f16_e32 v11, v95, v6
	s_delay_alu instid0(VALU_DEP_4) | instskip(NEXT) | instid1(VALU_DEP_4)
	v_mul_f16_e64 v34, v222, v2
	v_fma_f16 v35, v26, v2, -v7
	ds_load_2addr_b32 v[7:8], v135 offset0:8 offset1:204
	v_fmac_f16_e32 v34, v26, v5
	s_waitcnt lgkmcnt(0)
	v_lshrrev_b32_e32 v2, 16, v7
	v_mul_f16_e32 v9, v105, v7
	v_lshrrev_b32_e32 v14, 16, v8
	v_mul_f16_e32 v15, v94, v8
	s_delay_alu instid0(VALU_DEP_4) | instskip(NEXT) | instid1(VALU_DEP_4)
	v_mul_f16_e32 v36, v105, v2
	v_fma_f16 v37, v27, v2, -v9
	v_mul_f16_e32 v2, v99, v0
	v_mul_f16_e32 v9, v96, v4
	;; [unrolled: 1-line block ×3, first 2 shown]
	v_fmac_f16_e32 v36, v27, v7
	v_mul_f16_e32 v7, v99, v1
	v_fmac_f16_e32 v2, v28, v1
	v_lshrrev_b32_e32 v1, 16, v4
	v_fmac_f16_e32 v5, v31, v8
	s_delay_alu instid0(VALU_DEP_4) | instskip(NEXT) | instid1(VALU_DEP_3)
	v_fma_f16 v8, v28, v0, -v7
	v_mul_f16_e32 v3, v96, v1
	v_fma_f16 v7, v29, v1, -v9
	ds_load_2addr_b32 v[0:1], v157 offset0:16 offset1:212
	v_fma_f16 v9, v31, v14, -v15
	v_fmac_f16_e32 v3, v29, v4
	v_mul_f16_e32 v4, v95, v10
	s_delay_alu instid0(VALU_DEP_1) | instskip(SKIP_4) | instid1(VALU_DEP_2)
	v_fmac_f16_e32 v4, v30, v6
	v_fma_f16 v6, v30, v10, -v11
	s_waitcnt lgkmcnt(0)
	v_lshrrev_b32_e32 v10, 16, v0
	v_mul_f16_e32 v11, v48, v0
	v_mul_f16_e32 v24, v48, v10
	s_delay_alu instid0(VALU_DEP_2) | instskip(SKIP_3) | instid1(VALU_DEP_1)
	v_fma_f16 v25, v78, v10, -v11
	ds_load_2addr_b32 v[10:11], v151 offset0:32 offset1:228
	v_fmac_f16_e32 v24, v78, v0
	v_lshrrev_b32_e32 v0, 16, v1
	v_mul_f16_e32 v28, v49, v0
	s_delay_alu instid0(VALU_DEP_1) | instskip(SKIP_3) | instid1(VALU_DEP_2)
	v_fmac_f16_e32 v28, v76, v1
	s_waitcnt lgkmcnt(0)
	v_lshrrev_b32_e32 v14, 16, v10
	v_mul_f16_e64 v15, v224, v10
	v_mul_f16_e64 v26, v224, v14
	s_delay_alu instid0(VALU_DEP_2) | instskip(SKIP_1) | instid1(VALU_DEP_3)
	v_fma_f16 v27, v79, v14, -v15
	v_mul_f16_e32 v14, v106, v11
	v_fmac_f16_e32 v26, v79, v10
	v_mul_f16_e32 v10, v49, v1
	v_lshrrev_b32_e32 v1, 16, v11
	s_delay_alu instid0(VALU_DEP_2) | instskip(NEXT) | instid1(VALU_DEP_2)
	v_fma_f16 v30, v76, v0, -v10
	v_mul_f16_e32 v29, v106, v1
	v_fma_f16 v31, v77, v1, -v14
	ds_load_2addr_b32 v[0:1], v134 offset0:24 offset1:220
	ds_load_2addr_b32 v[14:15], v193 offset0:40 offset1:236
	v_fmac_f16_e32 v29, v77, v11
	s_waitcnt lgkmcnt(1)
	v_lshrrev_b32_e32 v10, 16, v0
	v_mul_f16_e64 v11, v213, v0
	s_waitcnt lgkmcnt(0)
	v_mul_f16_e32 v50, v93, v15
	s_delay_alu instid0(VALU_DEP_3) | instskip(NEXT) | instid1(VALU_DEP_3)
	v_mul_f16_e64 v46, v213, v10
	v_fma_f16 v47, v86, v10, -v11
	v_lshrrev_b32_e32 v10, 16, v14
	v_mul_f16_e64 v11, v166, v14
	s_delay_alu instid0(VALU_DEP_4) | instskip(SKIP_1) | instid1(VALU_DEP_4)
	v_fmac_f16_e32 v46, v86, v0
	v_lshrrev_b32_e32 v0, 16, v1
	v_mul_f16_e64 v48, v166, v10
	s_delay_alu instid0(VALU_DEP_4) | instskip(NEXT) | instid1(VALU_DEP_3)
	v_fma_f16 v49, v87, v10, -v11
	v_mul_f16_e32 v10, v92, v0
	s_delay_alu instid0(VALU_DEP_3) | instskip(SKIP_1) | instid1(VALU_DEP_3)
	v_fmac_f16_e32 v48, v87, v14
	v_mul_f16_e32 v14, v92, v1
	v_fmac_f16_e32 v10, v88, v1
	v_lshrrev_b32_e32 v1, 16, v15
	s_delay_alu instid0(VALU_DEP_3) | instskip(SKIP_1) | instid1(VALU_DEP_3)
	v_fma_f16 v14, v88, v0, -v14
	v_add_f16_e32 v0, v38, v26
	v_mul_f16_e32 v11, v93, v1
	s_delay_alu instid0(VALU_DEP_1)
	v_fmac_f16_e32 v11, v89, v15
	v_fma_f16 v15, v89, v1, -v50
	v_sub_f16_e32 v1, v38, v26
	v_add_f16_e32 v38, v40, v24
	v_add_f16_e32 v26, v39, v27
	v_sub_f16_e32 v27, v39, v27
	v_sub_f16_e32 v24, v40, v24
	v_add_f16_e32 v39, v41, v25
	v_sub_f16_e32 v25, v41, v25
	v_add_f16_e32 v40, v42, v44
	;; [unrolled: 2-line block ×3, first 2 shown]
	v_add_f16_e32 v42, v43, v45
	v_sub_f16_e32 v43, v45, v43
	v_sub_f16_e32 v45, v38, v0
	v_sub_f16_e32 v0, v0, v40
	v_sub_f16_e32 v38, v40, v38
	v_add_f16_e32 v40, v40, v44
	v_add_f16_e32 v44, v39, v26
	v_sub_f16_e32 v50, v39, v26
	v_sub_f16_e32 v26, v26, v42
	;; [unrolled: 1-line block ×4, first 2 shown]
	v_add_f16_e32 v42, v42, v44
	v_add_f16_e32 v44, v41, v24
	v_sub_f16_e32 v41, v1, v41
	v_sub_f16_e32 v24, v24, v1
	;; [unrolled: 1-line block ×3, first 2 shown]
	v_mul_f16_e32 v0, 0x3a52, v0
	v_add_f16_e32 v44, v44, v1
	v_add_f16_e32 v1, v43, v25
	v_sub_f16_e32 v43, v27, v43
	v_sub_f16_e32 v25, v25, v27
	s_delay_alu instid0(VALU_DEP_3) | instskip(SKIP_2) | instid1(VALU_DEP_2)
	v_add_f16_e32 v27, v1, v27
	v_mul_f16_e32 v1, 0x2b26, v38
	v_fmamk_f16 v38, v38, 0x2b26, v0
	v_fma_f16 v53, v45, 0x39e0, -v1
	v_fma_f16 v45, v45, 0xb9e0, -v0
	v_mul_f16_e32 v0, 0x3a52, v26
	v_mul_f16_e32 v1, 0x2b26, v39
	s_delay_alu instid0(VALU_DEP_2) | instskip(NEXT) | instid1(VALU_DEP_2)
	v_fmamk_f16 v26, v39, 0x2b26, v0
	v_fma_f16 v39, v50, 0x39e0, -v1
	v_fma_f16 v50, v50, 0xb9e0, -v0
	v_mul_f16_e32 v0, 0x3846, v51
	v_mul_f16_e32 v51, 0x3b00, v24
	s_delay_alu instid0(VALU_DEP_2) | instskip(SKIP_2) | instid1(VALU_DEP_4)
	v_fma_f16 v24, v24, 0xbb00, -v0
	v_fmamk_f16 v54, v41, 0xb574, v0
	v_mul_f16_e32 v0, 0x3846, v52
	v_fmac_f16_e32 v51, 0x3574, v41
	v_mul_f16_e32 v41, 0x3b00, v25
	v_fmac_f16_e32 v24, 0xb70e, v44
	v_fmac_f16_e32 v54, 0xb70e, v44
	v_fma_f16 v25, v25, 0xbb00, -v0
	v_fmamk_f16 v52, v43, 0xb574, v0
	ds_load_2addr_b32 v[0:1], v155 offset1:196
	v_fmac_f16_e32 v41, 0x3574, v43
	v_fmac_f16_e32 v51, 0xb70e, v44
	;; [unrolled: 1-line block ×4, first 2 shown]
	s_delay_alu instid0(VALU_DEP_4) | instskip(SKIP_4) | instid1(VALU_DEP_3)
	v_fmac_f16_e32 v41, 0xb70e, v27
	s_waitcnt lgkmcnt(0)
	v_add_f16_e32 v43, v0, v40
	v_lshrrev_b32_e32 v0, 16, v0
	v_lshrrev_b32_e32 v55, 16, v1
	v_fmamk_f16 v40, v40, 0xbcab, v43
	s_delay_alu instid0(VALU_DEP_3) | instskip(NEXT) | instid1(VALU_DEP_2)
	v_add_f16_e32 v0, v0, v42
	v_add_f16_e32 v38, v38, v40
	s_delay_alu instid0(VALU_DEP_2)
	v_fmamk_f16 v42, v42, 0xbcab, v0
	v_add_f16_e32 v53, v53, v40
	v_add_f16_e32 v40, v45, v40
	v_pack_b32_f16 v43, v43, v0
	v_add_f16_e32 v45, v52, v38
	v_add_f16_e32 v26, v26, v42
	;; [unrolled: 1-line block ×4, first 2 shown]
	v_sub_f16_e32 v38, v38, v52
	v_add_f16_e32 v52, v13, v28
	v_sub_f16_e32 v27, v53, v25
	v_add_f16_e32 v44, v24, v39
	;; [unrolled: 2-line block ×3, first 2 shown]
	v_sub_f16_e32 v40, v40, v41
	v_sub_f16_e32 v41, v42, v51
	v_add_f16_e32 v42, v51, v42
	v_add_f16_e32 v51, v12, v29
	;; [unrolled: 1-line block ×3, first 2 shown]
	v_sub_f16_e32 v50, v26, v54
	v_add_f16_e32 v26, v54, v26
	v_add_f16_e32 v53, v16, v17
	;; [unrolled: 1-line block ×3, first 2 shown]
	v_pack_b32_f16 v27, v27, v44
	v_pack_b32_f16 v0, v45, v50
	;; [unrolled: 1-line block ×4, first 2 shown]
	v_add_f16_e32 v54, v53, v54
	v_pack_b32_f16 v26, v38, v26
	v_sub_f16_e32 v12, v12, v29
	v_sub_f16_e32 v13, v13, v28
	;; [unrolled: 1-line block ×3, first 2 shown]
	v_add_f16_e32 v56, v1, v54
	v_pack_b32_f16 v1, v39, v41
	ds_store_b32 v155, v0 offset:3136
	ds_store_b32 v155, v1 offset:6272
	ds_store_b32 v155, v27 offset:9408
	ds_store_b32 v155, v24 offset:12544
	ds_store_b32 v155, v25 offset:15680
	ds_store_b32 v155, v26 offset:18816
	v_add_f16_e32 v24, v18, v31
	v_add_f16_e32 v25, v19, v30
	;; [unrolled: 1-line block ×3, first 2 shown]
	v_sub_f16_e32 v18, v18, v31
	v_sub_f16_e32 v19, v19, v30
	;; [unrolled: 1-line block ×3, first 2 shown]
	v_add_f16_e32 v0, v25, v24
	v_add_f16_e32 v29, v32, v46
	v_sub_f16_e32 v30, v32, v46
	v_add_f16_e32 v31, v33, v47
	v_sub_f16_e32 v32, v33, v47
	v_add_f16_e32 v27, v26, v0
	v_add_f16_e32 v33, v34, v36
	v_sub_f16_e32 v34, v36, v34
	v_add_f16_e32 v36, v35, v37
	v_sub_f16_e32 v35, v37, v35
	;; [unrolled: 2-line block ×3, first 2 shown]
	ds_load_2addr_b32 v[0:1], v124 offset0:8 offset1:204
	v_add_f16_e32 v40, v16, v13
	v_sub_f16_e32 v41, v16, v13
	v_pack_b32_f16 v39, v56, v38
	v_fmamk_f16 v21, v27, 0xbcab, v38
	v_sub_f16_e32 v38, v53, v52
	v_sub_f16_e32 v42, v12, v16
	v_add_f16_e32 v16, v17, v19
	ds_store_2addr_b32 v155, v43, v39 offset1:196
	v_sub_f16_e32 v39, v24, v26
	v_sub_f16_e32 v43, v17, v19
	v_mul_f16_e32 v37, 0x3a52, v37
	v_fmamk_f16 v20, v54, 0xbcab, v56
	v_sub_f16_e32 v26, v26, v25
	v_sub_f16_e32 v17, v18, v17
	v_add_f16_e32 v44, v16, v18
	v_mul_f16_e32 v39, 0x3a52, v39
	v_mul_f16_e32 v41, 0x3846, v41
	;; [unrolled: 1-line block ×3, first 2 shown]
	v_fmamk_f16 v16, v38, 0x2b26, v37
	v_add_f16_e32 v27, v22, v48
	v_sub_f16_e32 v22, v22, v48
	v_add_f16_e32 v40, v40, v12
	v_fmamk_f16 v47, v17, 0xb574, v43
	v_add_f16_e32 v45, v16, v20
	v_fmamk_f16 v16, v26, 0x2b26, v39
	v_fmamk_f16 v48, v42, 0xb574, v41
	v_add_f16_e32 v28, v23, v49
	v_fmac_f16_e32 v47, 0xb70e, v44
	v_sub_f16_e32 v23, v23, v49
	v_add_f16_e32 v46, v16, v21
	v_fmac_f16_e32 v48, 0xb70e, v40
	v_sub_f16_e32 v12, v13, v12
	v_add_f16_e32 v16, v47, v45
	v_sub_f16_e32 v18, v19, v18
	v_sub_f16_e32 v13, v52, v51
	;; [unrolled: 1-line block ×4, first 2 shown]
	v_mul_f16_e32 v19, 0x3b00, v12
	v_mul_f16_e32 v25, 0x3b00, v18
	v_sub_f16_e32 v53, v27, v33
	v_pack_b32_f16 v49, v16, v49
	v_add_f16_e32 v16, v29, v27
	v_sub_f16_e32 v55, v28, v36
	v_sub_f16_e32 v56, v34, v30
	v_add_f16_e32 v57, v35, v32
	v_fmac_f16_e32 v19, 0x3574, v42
	v_add_f16_e32 v50, v33, v16
	v_add_f16_e32 v16, v31, v28
	v_fmac_f16_e32 v25, 0x3574, v17
	v_sub_f16_e32 v17, v29, v27
	v_sub_f16_e32 v27, v31, v28
	;; [unrolled: 1-line block ×3, first 2 shown]
	v_add_f16_e32 v54, v36, v16
	v_add_f16_e32 v16, v34, v30
	v_sub_f16_e32 v36, v36, v31
	v_sub_f16_e32 v34, v22, v34
	v_fma_f16 v31, v24, 0xb9e0, -v39
	v_sub_f16_e32 v35, v23, v35
	v_add_f16_e32 v59, v16, v22
	v_sub_f16_e32 v22, v30, v22
	v_fma_f16 v30, v13, 0xb9e0, -v37
	v_add_f16_e32 v57, v57, v23
	s_waitcnt lgkmcnt(1)
	v_lshrrev_b32_e32 v16, 16, v0
	v_mul_f16_e32 v56, 0x3846, v56
	v_sub_f16_e32 v23, v32, v23
	v_mul_f16_e32 v28, 0x3b00, v22
	v_add_f16_e32 v30, v30, v20
	v_add_f16_e32 v31, v31, v21
	v_fmac_f16_e32 v25, 0xb70e, v44
	v_fmac_f16_e32 v19, 0xb70e, v40
	v_sub_f16_e32 v33, v33, v29
	v_add_f16_e32 v16, v16, v54
	v_mul_f16_e32 v53, 0x3a52, v53
	v_mul_f16_e32 v55, 0x3a52, v55
	;; [unrolled: 1-line block ×3, first 2 shown]
	v_add_f16_e32 v0, v0, v50
	v_fmamk_f16 v63, v34, 0xb574, v56
	v_fmac_f16_e32 v28, 0x3574, v34
	v_mul_f16_e32 v29, 0x3b00, v23
	v_add_f16_e32 v32, v25, v30
	v_sub_f16_e32 v34, v31, v19
	v_fmamk_f16 v50, v50, 0xbcab, v0
	v_fmamk_f16 v54, v54, 0xbcab, v16
	;; [unrolled: 1-line block ×3, first 2 shown]
	v_fmac_f16_e32 v29, 0x3574, v35
	v_pack_b32_f16 v32, v32, v34
	v_fma_f16 v34, v17, 0xb9e0, -v53
	v_fma_f16 v35, v27, 0xb9e0, -v55
	v_fmac_f16_e32 v28, 0xb70e, v59
	v_fmac_f16_e32 v29, 0xb70e, v57
	v_mul_f16_e32 v26, 0x2b26, v26
	v_add_f16_e32 v34, v34, v50
	v_add_f16_e32 v35, v35, v54
	v_fma_f16 v12, v12, 0xbb00, -v41
	v_fma_f16 v18, v18, 0xbb00, -v43
	;; [unrolled: 1-line block ×3, first 2 shown]
	v_add_f16_e32 v37, v29, v34
	v_sub_f16_e32 v39, v35, v28
	v_fmac_f16_e32 v12, 0xb70e, v40
	v_fma_f16 v22, v22, 0xbb00, -v56
	v_fma_f16 v23, v23, 0xbb00, -v58
	v_fmac_f16_e32 v18, 0xb70e, v44
	v_pack_b32_f16 v37, v37, v39
	v_fmamk_f16 v60, v33, 0x2b26, v53
	v_fmac_f16_e32 v22, 0xb70e, v59
	v_fmac_f16_e32 v23, 0xb70e, v57
	v_fmamk_f16 v61, v36, 0x2b26, v55
	ds_store_2addr_b32 v186, v32, v37 offset0:36 offset1:232
	v_mul_f16_e32 v32, 0x2b26, v38
	v_add_f16_e32 v60, v60, v50
	v_fmac_f16_e32 v62, 0xb70e, v57
	v_add_f16_e32 v61, v61, v54
	v_fmac_f16_e32 v63, 0xb70e, v59
	v_fma_f16 v13, v13, 0x39e0, -v32
	v_pack_b32_f16 v0, v0, v16
	v_add_f16_e32 v16, v8, v15
	v_add_f16_e32 v64, v62, v60
	v_sub_f16_e32 v65, v61, v63
	v_add_f16_e32 v13, v13, v20
	v_add_f16_e32 v20, v24, v21
	v_mul_f16_e32 v21, 0x2b26, v33
	s_delay_alu instid0(VALU_DEP_4) | instskip(NEXT) | instid1(VALU_DEP_4)
	v_pack_b32_f16 v64, v64, v65
	v_sub_f16_e32 v24, v13, v18
	s_delay_alu instid0(VALU_DEP_4) | instskip(NEXT) | instid1(VALU_DEP_4)
	v_add_f16_e32 v26, v12, v20
	v_fma_f16 v17, v17, 0x39e0, -v21
	v_mul_f16_e32 v21, 0x2b26, v36
	v_add_f16_e32 v13, v18, v13
	v_sub_f16_e32 v12, v20, v12
	v_pack_b32_f16 v24, v24, v26
	v_add_f16_e32 v17, v17, v50
	v_fma_f16 v21, v27, 0x39e0, -v21
	ds_store_2addr_b32 v192, v49, v64 offset0:20 offset1:216
	v_pack_b32_f16 v12, v13, v12
	v_sub_f16_e32 v26, v17, v23
	v_add_f16_e32 v21, v21, v54
	v_add_f16_e32 v17, v23, v17
	;; [unrolled: 1-line block ×3, first 2 shown]
	s_delay_alu instid0(VALU_DEP_3)
	v_sub_f16_e32 v18, v21, v22
	v_add_f16_e32 v27, v22, v21
	v_add_f16_e32 v22, v7, v14
	v_lshrrev_b32_e32 v21, 16, v1
	v_sub_f16_e32 v7, v7, v14
	v_pack_b32_f16 v13, v17, v18
	v_sub_f16_e32 v17, v34, v29
	v_add_f16_e32 v18, v28, v35
	v_pack_b32_f16 v26, v26, v27
	v_lshrrev_b32_e32 v27, 16, v149
	ds_store_2addr_b32 v184, v12, v13 offset0:4 offset1:200
	v_sub_f16_e32 v12, v30, v25
	v_add_f16_e32 v13, v19, v31
	ds_store_2addr_b32 v183, v24, v26 offset0:52 offset1:248
	v_add_f16_e32 v24, v22, v16
	v_lshrrev_b32_e32 v28, 16, v146
	v_lshrrev_b32_e32 v30, 16, v141
	v_pack_b32_f16 v12, v12, v13
	v_pack_b32_f16 v13, v17, v18
	v_sub_f16_e32 v17, v60, v62
	v_add_f16_e32 v18, v63, v61
	v_add_f16_e32 v24, v23, v24
	v_lshrrev_b32_e32 v34, 16, v126
	ds_store_2addr_b32 v187, v12, v13 offset0:20 offset1:216
	v_sub_f16_e32 v12, v45, v47
	v_add_f16_e32 v13, v48, v46
	v_add_f16_e32 v21, v21, v24
	s_delay_alu instid0(VALU_DEP_2) | instskip(SKIP_4) | instid1(VALU_DEP_1)
	v_pack_b32_f16 v12, v12, v13
	v_pack_b32_f16 v13, v17, v18
	ds_store_2addr_b32 v189, v12, v13 offset0:36 offset1:232
	v_mad_u64_u32 v[12:13], null, s10, v136, 0
	s_mul_hi_u32 s10, s8, 0xc40
	v_mad_u64_u32 v[17:18], null, s11, v136, v[13:14]
	v_sub_f16_e32 v14, v23, v22
	s_mul_i32 s11, s8, 0xc40
	s_delay_alu instid0(VALU_DEP_2) | instskip(SKIP_1) | instid1(VALU_DEP_2)
	v_mov_b32_e32 v13, v17
	v_mad_u64_u32 v[17:18], null, s8, v145, 0
	v_lshlrev_b64 v[12:13], 2, v[12:13]
	s_delay_alu instid0(VALU_DEP_2) | instskip(NEXT) | instid1(VALU_DEP_1)
	v_mad_u64_u32 v[19:20], null, s9, v145, v[18:19]
	v_mov_b32_e32 v18, v19
	s_delay_alu instid0(VALU_DEP_3) | instskip(NEXT) | instid1(VALU_DEP_4)
	v_add_co_u32 v19, vcc_lo, s0, v12
	v_add_co_ci_u32_e32 v20, vcc_lo, s1, v13, vcc_lo
	s_delay_alu instid0(VALU_DEP_3)
	v_lshlrev_b64 v[12:13], 2, v[17:18]
	v_add_f16_e32 v17, v2, v11
	v_add_f16_e32 v18, v3, v10
	v_sub_f16_e32 v3, v3, v10
	v_sub_f16_e32 v10, v22, v16
	v_add_co_u32 v12, vcc_lo, v19, v12
	v_add_co_ci_u32_e32 v13, vcc_lo, v20, v13, vcc_lo
	v_add_f16_e32 v19, v4, v5
	v_add_f16_e32 v20, v18, v17
	v_sub_f16_e32 v4, v5, v4
	v_sub_f16_e32 v5, v9, v6
	;; [unrolled: 1-line block ×4, first 2 shown]
	v_add_f16_e32 v20, v19, v20
	s_delay_alu instid0(VALU_DEP_2) | instskip(NEXT) | instid1(VALU_DEP_2)
	v_mul_f16_e32 v18, 0x2b26, v9
	v_add_f16_e32 v1, v1, v20
	s_delay_alu instid0(VALU_DEP_2) | instskip(NEXT) | instid1(VALU_DEP_2)
	v_fma_f16 v18, v6, 0x39e0, -v18
	v_pack_b32_f16 v25, v1, v21
	v_fmamk_f16 v1, v20, 0xbcab, v1
	ds_store_2addr_b32 v124, v0, v25 offset0:8 offset1:204
	v_sub_f16_e32 v0, v2, v11
	v_sub_f16_e32 v2, v8, v15
	;; [unrolled: 1-line block ×4, first 2 shown]
	v_add_f16_e32 v15, v4, v3
	v_sub_f16_e32 v16, v4, v3
	v_sub_f16_e32 v3, v3, v0
	v_mul_f16_e32 v8, 0x3a52, v8
	v_sub_f16_e32 v4, v0, v4
	v_sub_f16_e32 v17, v5, v7
	v_add_f16_e32 v0, v15, v0
	v_add_f16_e32 v15, v5, v7
	v_fmamk_f16 v9, v9, 0x2b26, v8
	v_fma_f16 v6, v6, 0xb9e0, -v8
	v_mul_f16_e32 v8, 0x3a52, v11
	v_mul_f16_e32 v11, 0x2b26, v14
	v_sub_f16_e32 v7, v7, v2
	v_sub_f16_e32 v5, v2, v5
	v_add_f16_e32 v2, v15, v2
	v_fmamk_f16 v14, v14, 0x2b26, v8
	v_fma_f16 v11, v10, 0x39e0, -v11
	v_fma_f16 v8, v10, 0xb9e0, -v8
	v_mul_f16_e32 v10, 0x3846, v16
	v_mul_f16_e32 v16, 0x3b00, v3
	v_fmamk_f16 v15, v24, 0xbcab, v21
	v_lshrrev_b32_e32 v25, 16, v152
	s_delay_alu instid0(VALU_DEP_4)
	v_fma_f16 v3, v3, 0xbb00, -v10
	v_fmamk_f16 v10, v4, 0xb574, v10
	v_fmac_f16_e32 v16, 0x3574, v4
	v_mul_f16_e32 v4, 0x3846, v17
	v_mul_f16_e32 v17, 0x3b00, v7
	v_add_f16_e32 v11, v11, v15
	v_fmac_f16_e32 v10, 0xb70e, v0
	v_add_f16_e32 v8, v8, v15
	v_fma_f16 v7, v7, 0xbb00, -v4
	v_fmamk_f16 v4, v5, 0xb574, v4
	v_fmac_f16_e32 v17, 0x3574, v5
	v_add_f16_e32 v5, v9, v1
	v_add_f16_e32 v9, v18, v1
	v_add_f16_e32 v1, v6, v1
	v_add_f16_e32 v6, v14, v15
	v_fmac_f16_e32 v4, 0xb70e, v2
	v_fmac_f16_e32 v7, 0xb70e, v2
	;; [unrolled: 1-line block ×5, first 2 shown]
	v_add_f16_e32 v14, v4, v5
	v_sub_f16_e32 v4, v5, v4
	v_sub_f16_e32 v5, v6, v10
	;; [unrolled: 1-line block ×3, first 2 shown]
	v_add_f16_e32 v2, v7, v9
	v_add_f16_e32 v7, v3, v11
	v_sub_f16_e32 v3, v11, v3
	v_add_f16_e32 v9, v17, v1
	v_sub_f16_e32 v11, v8, v16
	v_sub_f16_e32 v1, v1, v17
	v_add_f16_e32 v8, v16, v8
	v_add_f16_e32 v6, v10, v6
	v_pack_b32_f16 v5, v14, v5
	v_pack_b32_f16 v9, v9, v11
	;; [unrolled: 1-line block ×6, first 2 shown]
	ds_store_b32 v155, v5 offset:5488
	ds_store_b32 v155, v9 offset:8624
	;; [unrolled: 1-line block ×6, first 2 shown]
	s_waitcnt lgkmcnt(0)
	s_barrier
	buffer_gl0_inv
	ds_load_2addr_b32 v[4:5], v155 offset1:196
	ds_load_2addr_b32 v[7:8], v161 offset0:16 offset1:212
	s_clause 0x7
	scratch_load_b32 v33, off, off offset:140
	scratch_load_b32 v32, off, off offset:136
	;; [unrolled: 1-line block ×8, first 2 shown]
	s_waitcnt lgkmcnt(1)
	v_lshrrev_b32_e32 v16, 16, v4
	v_mul_f16_e32 v0, v25, v4
	s_waitcnt lgkmcnt(0)
	v_lshrrev_b32_e32 v21, 16, v7
	s_delay_alu instid0(VALU_DEP_2) | instskip(NEXT) | instid1(VALU_DEP_1)
	v_fma_f16 v0, v152, v16, -v0
	v_cvt_f32_f16_e32 v0, v0
	s_delay_alu instid0(VALU_DEP_1) | instskip(NEXT) | instid1(VALU_DEP_1)
	v_cvt_f64_f32_e32 v[0:1], v0
	v_mul_f64 v[0:1], v[0:1], s[6:7]
	s_delay_alu instid0(VALU_DEP_1) | instskip(SKIP_3) | instid1(VALU_DEP_4)
	v_and_or_b32 v0, 0x1ff, v1, v0
	v_lshrrev_b32_e32 v2, 8, v1
	v_bfe_u32 v19, v1, 20, 11
	v_lshrrev_b32_e32 v1, 16, v1
	v_cmp_ne_u32_e32 vcc_lo, 0, v0
	v_cndmask_b32_e64 v0, 0, 1, vcc_lo
	s_delay_alu instid0(VALU_DEP_1) | instskip(SKIP_1) | instid1(VALU_DEP_2)
	v_and_or_b32 v0, 0xffe, v2, v0
	v_sub_nc_u32_e32 v2, 0x3f1, v19
	v_or_b32_e32 v3, 0x1000, v0
	s_delay_alu instid0(VALU_DEP_2) | instskip(NEXT) | instid1(VALU_DEP_1)
	v_med3_i32 v2, v2, 0, 13
	v_lshrrev_b32_e32 v20, v2, v3
	s_delay_alu instid0(VALU_DEP_1) | instskip(NEXT) | instid1(VALU_DEP_1)
	v_lshlrev_b32_e32 v2, v2, v20
	v_cmp_ne_u32_e64 s1, v2, v3
	v_mul_f16_e32 v2, v27, v7
	s_delay_alu instid0(VALU_DEP_1) | instskip(NEXT) | instid1(VALU_DEP_1)
	v_fma_f16 v2, v149, v21, -v2
	v_cvt_f32_f16_e32 v2, v2
	s_delay_alu instid0(VALU_DEP_1) | instskip(NEXT) | instid1(VALU_DEP_1)
	v_cvt_f64_f32_e32 v[2:3], v2
	v_mul_f64 v[14:15], v[2:3], s[6:7]
	s_delay_alu instid0(VALU_DEP_1) | instskip(SKIP_2) | instid1(VALU_DEP_3)
	v_and_or_b32 v2, 0x1ff, v15, v14
	v_lshrrev_b32_e32 v3, 8, v15
	v_bfe_u32 v23, v15, 20, 11
	v_cmp_ne_u32_e32 vcc_lo, 0, v2
	v_cndmask_b32_e64 v2, 0, 1, vcc_lo
	s_delay_alu instid0(VALU_DEP_1) | instskip(NEXT) | instid1(VALU_DEP_4)
	v_and_or_b32 v22, 0xffe, v3, v2
	v_sub_nc_u32_e32 v2, 0x3f1, v23
	s_delay_alu instid0(VALU_DEP_2) | instskip(NEXT) | instid1(VALU_DEP_2)
	v_or_b32_e32 v3, 0x1000, v22
	v_med3_i32 v2, v2, 0, 13
	s_delay_alu instid0(VALU_DEP_1) | instskip(NEXT) | instid1(VALU_DEP_1)
	v_lshrrev_b32_e32 v24, v2, v3
	v_lshlrev_b32_e32 v2, v2, v24
	s_delay_alu instid0(VALU_DEP_1) | instskip(SKIP_4) | instid1(VALU_DEP_1)
	v_cmp_ne_u32_e64 s0, v2, v3
	ds_load_2addr_b32 v[2:3], v162 offset0:32 offset1:228
	s_waitcnt lgkmcnt(0)
	v_lshrrev_b32_e32 v17, 16, v2
	v_mul_f16_e32 v6, v28, v2
	v_fma_f16 v6, v146, v17, -v6
	s_delay_alu instid0(VALU_DEP_1) | instskip(NEXT) | instid1(VALU_DEP_1)
	v_cvt_f32_f16_e32 v6, v6
	v_cvt_f64_f32_e32 v[9:10], v6
	s_delay_alu instid0(VALU_DEP_1) | instskip(NEXT) | instid1(VALU_DEP_1)
	v_mul_f64 v[10:11], v[9:10], s[6:7]
	v_and_or_b32 v6, 0x1ff, v11, v10
	v_lshrrev_b32_e32 v9, 8, v11
	v_bfe_u32 v14, v11, 20, 11
	v_lshrrev_b32_e32 v11, 16, v11
	s_delay_alu instid0(VALU_DEP_4) | instskip(SKIP_1) | instid1(VALU_DEP_1)
	v_cmp_ne_u32_e32 vcc_lo, 0, v6
	v_cndmask_b32_e64 v6, 0, 1, vcc_lo
	v_and_or_b32 v6, 0xffe, v9, v6
	v_sub_nc_u32_e32 v9, 0x3f1, v14
	s_delay_alu instid0(VALU_DEP_2) | instskip(NEXT) | instid1(VALU_DEP_2)
	v_or_b32_e32 v10, 0x1000, v6
	v_med3_i32 v9, v9, 0, 13
	s_delay_alu instid0(VALU_DEP_1) | instskip(NEXT) | instid1(VALU_DEP_1)
	v_lshrrev_b32_e32 v18, v9, v10
	v_lshlrev_b32_e32 v9, v9, v18
	s_delay_alu instid0(VALU_DEP_1) | instskip(SKIP_1) | instid1(VALU_DEP_1)
	v_cmp_ne_u32_e32 vcc_lo, v9, v10
	v_mul_f16_e32 v9, v25, v16
	v_fmac_f16_e64 v9, v152, v4
	s_delay_alu instid0(VALU_DEP_1) | instskip(NEXT) | instid1(VALU_DEP_1)
	v_cvt_f32_f16_e32 v4, v9
	v_cvt_f64_f32_e32 v[9:10], v4
	s_delay_alu instid0(VALU_DEP_1) | instskip(NEXT) | instid1(VALU_DEP_1)
	v_mul_f64 v[9:10], v[9:10], s[6:7]
	v_and_or_b32 v4, 0x1ff, v10, v9
	v_lshrrev_b32_e32 v9, 8, v10
	s_delay_alu instid0(VALU_DEP_2) | instskip(NEXT) | instid1(VALU_DEP_1)
	v_cmp_ne_u32_e64 s2, 0, v4
	v_cndmask_b32_e64 v4, 0, 1, s2
	s_delay_alu instid0(VALU_DEP_1) | instskip(SKIP_2) | instid1(VALU_DEP_3)
	v_and_or_b32 v4, 0xffe, v9, v4
	v_bfe_u32 v9, v10, 20, 11
	v_lshrrev_b32_e32 v10, 16, v10
	v_or_b32_e32 v25, 0x1000, v4
	s_delay_alu instid0(VALU_DEP_3) | instskip(SKIP_1) | instid1(VALU_DEP_2)
	v_sub_nc_u32_e32 v16, 0x3f1, v9
	v_add_nc_u32_e32 v9, 0xfffffc10, v9
	v_med3_i32 v16, v16, 0, 13
	s_delay_alu instid0(VALU_DEP_1) | instskip(NEXT) | instid1(VALU_DEP_1)
	v_lshrrev_b32_e32 v26, v16, v25
	v_lshlrev_b32_e32 v16, v16, v26
	s_delay_alu instid0(VALU_DEP_1) | instskip(SKIP_1) | instid1(VALU_DEP_2)
	v_cmp_ne_u32_e64 s2, v16, v25
	v_lshl_or_b32 v25, v9, 12, v4
	v_cndmask_b32_e64 v16, 0, 1, s2
	v_cmp_gt_i32_e64 s2, 1, v9
	s_delay_alu instid0(VALU_DEP_2) | instskip(NEXT) | instid1(VALU_DEP_1)
	v_or_b32_e32 v16, v26, v16
	v_cndmask_b32_e64 v16, v25, v16, s2
	s_delay_alu instid0(VALU_DEP_1) | instskip(SKIP_1) | instid1(VALU_DEP_2)
	v_and_b32_e32 v25, 7, v16
	v_lshrrev_b32_e32 v16, 2, v16
	v_cmp_lt_i32_e64 s2, 5, v25
	v_cmp_eq_u32_e64 s3, 3, v25
	v_cndmask_b32_e64 v25, 0, 1, s1
	v_cmp_ne_u32_e64 s1, 0, v4
	v_add_nc_u32_e32 v4, 0xfffffc10, v19
	s_delay_alu instid0(VALU_DEP_4) | instskip(NEXT) | instid1(VALU_DEP_3)
	s_or_b32 s2, s3, s2
	v_or_b32_e32 v20, v20, v25
	v_add_co_ci_u32_e64 v16, s2, 0, v16, s2
	s_delay_alu instid0(VALU_DEP_3) | instskip(SKIP_3) | instid1(VALU_DEP_3)
	v_lshl_or_b32 v19, v4, 12, v0
	v_cmp_gt_i32_e64 s4, 1, v4
	v_cmp_gt_i32_e64 s2, 31, v9
	v_cmp_ne_u32_e64 s3, 0, v0
	v_cndmask_b32_e64 v19, v19, v20, s4
	v_cndmask_b32_e64 v20, 0, 1, s1
	s_delay_alu instid0(VALU_DEP_4) | instskip(SKIP_1) | instid1(VALU_DEP_4)
	v_cndmask_b32_e64 v16, 0x7c00, v16, s2
	v_cmp_eq_u32_e64 s1, 0x40f, v9
	v_lshrrev_b32_e32 v0, 2, v19
	s_delay_alu instid0(VALU_DEP_4) | instskip(NEXT) | instid1(VALU_DEP_1)
	v_lshl_or_b32 v20, v20, 9, 0x7c00
	v_cndmask_b32_e64 v9, v16, v20, s1
	v_and_b32_e32 v16, 7, v19
	s_delay_alu instid0(VALU_DEP_1) | instskip(SKIP_2) | instid1(VALU_DEP_2)
	v_cmp_lt_i32_e64 s1, 5, v16
	v_cmp_eq_u32_e64 s2, 3, v16
	v_cndmask_b32_e64 v16, 0, 1, s3
	s_or_b32 s1, s2, s1
	s_delay_alu instid0(VALU_DEP_1) | instskip(SKIP_2) | instid1(VALU_DEP_1)
	v_lshl_or_b32 v16, v16, 9, 0x7c00
	v_add_co_ci_u32_e64 v0, s1, 0, v0, s1
	v_cmp_gt_i32_e64 s1, 31, v4
	v_cndmask_b32_e64 v0, 0x7c00, v0, s1
	v_cmp_eq_u32_e64 s1, 0x40f, v4
	v_and_or_b32 v4, 0x8000, v10, v9
	s_delay_alu instid0(VALU_DEP_2) | instskip(SKIP_1) | instid1(SALU_CYCLE_1)
	v_cndmask_b32_e64 v0, v0, v16, s1
	s_mul_i32 s1, s9, 0xc40
	s_add_i32 s10, s10, s1
	s_delay_alu instid0(VALU_DEP_1) | instskip(SKIP_2) | instid1(VALU_DEP_2)
	v_and_or_b32 v0, 0x8000, v1, v0
	v_and_b32_e32 v1, 0xffff, v4
	v_mul_f16_e32 v4, v27, v21
	v_lshl_or_b32 v0, v0, 16, v1
	s_delay_alu instid0(VALU_DEP_2) | instskip(SKIP_3) | instid1(VALU_DEP_1)
	v_fmac_f16_e64 v4, v149, v7
	global_store_b32 v[12:13], v0, off
	v_cvt_f32_f16_e32 v4, v4
	v_add_co_u32 v0, s1, v12, s11
	v_add_co_ci_u32_e64 v1, s1, s10, v13, s1
	s_delay_alu instid0(VALU_DEP_3) | instskip(NEXT) | instid1(VALU_DEP_1)
	v_cvt_f64_f32_e32 v[9:10], v4
	v_mul_f64 v[9:10], v[9:10], s[6:7]
	s_delay_alu instid0(VALU_DEP_1) | instskip(SKIP_1) | instid1(VALU_DEP_2)
	v_and_or_b32 v4, 0x1ff, v10, v9
	v_lshrrev_b32_e32 v7, 8, v10
	v_cmp_ne_u32_e64 s1, 0, v4
	s_delay_alu instid0(VALU_DEP_1) | instskip(NEXT) | instid1(VALU_DEP_1)
	v_cndmask_b32_e64 v4, 0, 1, s1
	v_and_or_b32 v4, 0xffe, v7, v4
	v_bfe_u32 v7, v10, 20, 11
	s_delay_alu instid0(VALU_DEP_2) | instskip(NEXT) | instid1(VALU_DEP_2)
	v_or_b32_e32 v12, 0x1000, v4
	v_sub_nc_u32_e32 v9, 0x3f1, v7
	v_add_nc_u32_e32 v7, 0xfffffc10, v7
	v_cmp_ne_u32_e64 s2, 0, v4
	s_delay_alu instid0(VALU_DEP_3) | instskip(NEXT) | instid1(VALU_DEP_1)
	v_med3_i32 v9, v9, 0, 13
	v_lshrrev_b32_e32 v13, v9, v12
	s_delay_alu instid0(VALU_DEP_1) | instskip(NEXT) | instid1(VALU_DEP_1)
	v_lshlrev_b32_e32 v9, v9, v13
	v_cmp_ne_u32_e64 s1, v9, v12
	v_lshl_or_b32 v12, v7, 12, v4
	s_delay_alu instid0(VALU_DEP_2) | instskip(SKIP_1) | instid1(VALU_DEP_2)
	v_cndmask_b32_e64 v9, 0, 1, s1
	v_cmp_gt_i32_e64 s1, 1, v7
	v_or_b32_e32 v9, v13, v9
	v_add_nc_u32_e32 v13, 0xfffffc10, v23
	s_delay_alu instid0(VALU_DEP_2) | instskip(SKIP_1) | instid1(VALU_DEP_3)
	v_cndmask_b32_e64 v9, v12, v9, s1
	v_cndmask_b32_e64 v12, 0, 1, s0
	v_lshl_or_b32 v16, v13, 12, v22
	v_cmp_gt_i32_e64 s0, 1, v13
	s_delay_alu instid0(VALU_DEP_3) | instskip(NEXT) | instid1(VALU_DEP_1)
	v_or_b32_e32 v12, v24, v12
	v_cndmask_b32_e64 v12, v16, v12, s0
	v_and_b32_e32 v16, 7, v9
	s_delay_alu instid0(VALU_DEP_2) | instskip(NEXT) | instid1(VALU_DEP_2)
	v_and_b32_e32 v4, 7, v12
	v_cmp_lt_i32_e64 s0, 5, v16
	v_cmp_eq_u32_e64 s1, 3, v16
	s_delay_alu instid0(VALU_DEP_3) | instskip(SKIP_2) | instid1(VALU_DEP_4)
	v_cmp_lt_i32_e64 s3, 5, v4
	v_cmp_eq_u32_e64 s4, 3, v4
	v_lshrrev_b32_e32 v4, 2, v9
	s_or_b32 s0, s1, s0
	v_cndmask_b32_e64 v9, 0, 1, s2
	s_delay_alu instid0(VALU_DEP_3) | instskip(NEXT) | instid1(VALU_DEP_2)
	s_or_b32 s1, s4, s3
	v_add_co_ci_u32_e64 v4, s0, 0, v4, s0
	v_cmp_gt_i32_e64 s0, 31, v7
	s_delay_alu instid0(VALU_DEP_3) | instskip(NEXT) | instid1(VALU_DEP_2)
	v_lshl_or_b32 v9, v9, 9, 0x7c00
	v_cndmask_b32_e64 v4, 0x7c00, v4, s0
	v_cmp_eq_u32_e64 s0, 0x40f, v7
	v_lshrrev_b32_e32 v7, 16, v10
	s_delay_alu instid0(VALU_DEP_2) | instskip(SKIP_2) | instid1(VALU_DEP_3)
	v_cndmask_b32_e64 v4, v4, v9, s0
	v_lshrrev_b32_e32 v9, 2, v12
	v_cmp_ne_u32_e64 s0, 0, v22
	v_and_or_b32 v4, 0x8000, v7, v4
	s_delay_alu instid0(VALU_DEP_3) | instskip(SKIP_1) | instid1(VALU_DEP_4)
	v_add_co_ci_u32_e64 v9, s1, 0, v9, s1
	v_cmp_gt_i32_e64 s1, 31, v13
	v_cndmask_b32_e64 v10, 0, 1, s0
	v_cmp_eq_u32_e64 s0, 0x40f, v13
	v_and_b32_e32 v4, 0xffff, v4
	s_delay_alu instid0(VALU_DEP_4) | instskip(NEXT) | instid1(VALU_DEP_4)
	v_cndmask_b32_e64 v9, 0x7c00, v9, s1
	v_lshl_or_b32 v10, v10, 9, 0x7c00
	s_delay_alu instid0(VALU_DEP_1) | instskip(SKIP_2) | instid1(VALU_DEP_1)
	v_cndmask_b32_e64 v9, v9, v10, s0
	v_lshrrev_b32_e32 v10, 16, v15
	v_add_co_u32 v20, s0, v0, s11
	v_add_co_ci_u32_e64 v21, s0, s10, v1, s0
	s_delay_alu instid0(VALU_DEP_3)
	v_and_or_b32 v7, 0x8000, v10, v9
	ds_load_2addr_b32 v[9:10], v160 offset0:48 offset1:244
	v_lshl_or_b32 v4, v7, 16, v4
	global_store_b32 v[0:1], v4, off
	s_waitcnt lgkmcnt(0)
	v_lshrrev_b32_e32 v27, 16, v9
	v_mul_f16_e32 v0, v30, v9
	s_delay_alu instid0(VALU_DEP_1) | instskip(SKIP_1) | instid1(VALU_DEP_2)
	v_fma_f16 v0, v141, v27, -v0
	v_mul_f16_e32 v27, v30, v27
	v_cvt_f32_f16_e32 v0, v0
	s_delay_alu instid0(VALU_DEP_2) | instskip(NEXT) | instid1(VALU_DEP_2)
	v_fmac_f16_e64 v27, v141, v9
	v_cvt_f64_f32_e32 v[0:1], v0
	s_delay_alu instid0(VALU_DEP_2) | instskip(NEXT) | instid1(VALU_DEP_2)
	v_cvt_f32_f16_e32 v9, v27
	v_mul_f64 v[15:16], v[0:1], s[6:7]
	s_delay_alu instid0(VALU_DEP_1) | instskip(SKIP_3) | instid1(VALU_DEP_4)
	v_and_or_b32 v0, 0x1ff, v16, v15
	v_lshrrev_b32_e32 v1, 8, v16
	v_bfe_u32 v24, v16, 20, 11
	v_lshrrev_b32_e32 v16, 16, v16
	v_cmp_ne_u32_e64 s0, 0, v0
	s_delay_alu instid0(VALU_DEP_1) | instskip(NEXT) | instid1(VALU_DEP_1)
	v_cndmask_b32_e64 v0, 0, 1, s0
	v_and_or_b32 v19, 0xffe, v1, v0
	v_sub_nc_u32_e32 v0, 0x3f1, v24
	v_add_nc_u32_e32 v24, 0xfffffc10, v24
	s_delay_alu instid0(VALU_DEP_3) | instskip(NEXT) | instid1(VALU_DEP_3)
	v_or_b32_e32 v1, 0x1000, v19
	v_med3_i32 v0, v0, 0, 13
	s_delay_alu instid0(VALU_DEP_1) | instskip(NEXT) | instid1(VALU_DEP_1)
	v_lshrrev_b32_e32 v26, v0, v1
	v_lshlrev_b32_e32 v0, v0, v26
	s_delay_alu instid0(VALU_DEP_1) | instskip(SKIP_4) | instid1(VALU_DEP_1)
	v_cmp_ne_u32_e64 s0, v0, v1
	ds_load_2addr_b32 v[0:1], v159 offset1:196
	s_waitcnt lgkmcnt(0)
	v_lshrrev_b32_e32 v4, 16, v0
	v_mul_f16_e32 v7, v34, v0
	v_fma_f16 v7, v126, v4, -v7
	v_mul_f16_e32 v4, v34, v4
	s_delay_alu instid0(VALU_DEP_2) | instskip(NEXT) | instid1(VALU_DEP_2)
	v_cvt_f32_f16_e32 v7, v7
	v_fmac_f16_e32 v4, v126, v0
	s_delay_alu instid0(VALU_DEP_2) | instskip(NEXT) | instid1(VALU_DEP_2)
	v_cvt_f64_f32_e32 v[12:13], v7
	v_cvt_f32_f16_e32 v0, v4
	s_delay_alu instid0(VALU_DEP_2) | instskip(NEXT) | instid1(VALU_DEP_1)
	v_mul_f64 v[12:13], v[12:13], s[6:7]
	v_and_or_b32 v7, 0x1ff, v13, v12
	v_lshrrev_b32_e32 v12, 8, v13
	v_bfe_u32 v22, v13, 20, 11
	s_delay_alu instid0(VALU_DEP_3) | instskip(NEXT) | instid1(VALU_DEP_1)
	v_cmp_ne_u32_e64 s1, 0, v7
	v_cndmask_b32_e64 v7, 0, 1, s1
	s_delay_alu instid0(VALU_DEP_1) | instskip(NEXT) | instid1(VALU_DEP_4)
	v_and_or_b32 v12, 0xffe, v12, v7
	v_sub_nc_u32_e32 v7, 0x3f1, v22
	s_delay_alu instid0(VALU_DEP_2) | instskip(NEXT) | instid1(VALU_DEP_2)
	v_or_b32_e32 v15, 0x1000, v12
	v_med3_i32 v7, v7, 0, 13
	s_delay_alu instid0(VALU_DEP_1) | instskip(NEXT) | instid1(VALU_DEP_1)
	v_lshrrev_b32_e32 v25, v7, v15
	v_lshlrev_b32_e32 v7, v7, v25
	s_delay_alu instid0(VALU_DEP_1) | instskip(SKIP_1) | instid1(VALU_DEP_1)
	v_cmp_ne_u32_e64 s1, v7, v15
	v_mul_f16_e32 v7, v28, v17
	v_fmac_f16_e64 v7, v146, v2
	s_delay_alu instid0(VALU_DEP_1) | instskip(NEXT) | instid1(VALU_DEP_1)
	v_cvt_f32_f16_e32 v2, v7
	v_cvt_f64_f32_e32 v[28:29], v2
	s_delay_alu instid0(VALU_DEP_1) | instskip(NEXT) | instid1(VALU_DEP_1)
	v_mul_f64 v[28:29], v[28:29], s[6:7]
	v_and_or_b32 v2, 0x1ff, v29, v28
	v_lshrrev_b32_e32 v7, 8, v29
	v_lshrrev_b32_e32 v28, 16, v144
	s_delay_alu instid0(VALU_DEP_3) | instskip(NEXT) | instid1(VALU_DEP_1)
	v_cmp_ne_u32_e64 s2, 0, v2
	v_cndmask_b32_e64 v2, 0, 1, s2
	s_delay_alu instid0(VALU_DEP_1) | instskip(SKIP_1) | instid1(VALU_DEP_2)
	v_and_or_b32 v2, 0xffe, v7, v2
	v_bfe_u32 v7, v29, 20, 11
	v_or_b32_e32 v17, 0x1000, v2
	s_delay_alu instid0(VALU_DEP_2) | instskip(SKIP_1) | instid1(VALU_DEP_2)
	v_sub_nc_u32_e32 v15, 0x3f1, v7
	v_add_nc_u32_e32 v7, 0xfffffc10, v7
	v_med3_i32 v15, v15, 0, 13
	s_delay_alu instid0(VALU_DEP_1) | instskip(NEXT) | instid1(VALU_DEP_1)
	v_lshrrev_b32_e32 v23, v15, v17
	v_lshlrev_b32_e32 v15, v15, v23
	s_delay_alu instid0(VALU_DEP_1) | instskip(SKIP_1) | instid1(VALU_DEP_2)
	v_cmp_ne_u32_e64 s2, v15, v17
	v_lshl_or_b32 v17, v7, 12, v2
	v_cndmask_b32_e64 v15, 0, 1, s2
	v_cmp_gt_i32_e64 s2, 1, v7
	s_delay_alu instid0(VALU_DEP_2) | instskip(NEXT) | instid1(VALU_DEP_1)
	v_or_b32_e32 v15, v23, v15
	v_cndmask_b32_e64 v15, v17, v15, s2
	s_delay_alu instid0(VALU_DEP_1) | instskip(SKIP_1) | instid1(VALU_DEP_2)
	v_and_b32_e32 v17, 7, v15
	v_lshrrev_b32_e32 v15, 2, v15
	v_cmp_lt_i32_e64 s2, 5, v17
	v_cmp_eq_u32_e64 s3, 3, v17
	v_cndmask_b32_e64 v17, 0, 1, vcc_lo
	v_cmp_ne_u32_e32 vcc_lo, 0, v2
	v_add_nc_u32_e32 v2, 0xfffffc10, v14
	s_delay_alu instid0(VALU_DEP_4) | instskip(NEXT) | instid1(VALU_DEP_3)
	s_or_b32 s2, s3, s2
	v_or_b32_e32 v17, v18, v17
	v_add_co_ci_u32_e64 v15, s2, 0, v15, s2
	s_delay_alu instid0(VALU_DEP_3) | instskip(SKIP_4) | instid1(VALU_DEP_4)
	v_lshl_or_b32 v14, v2, 12, v6
	v_cmp_gt_i32_e64 s4, 1, v2
	v_cmp_gt_i32_e64 s2, 31, v7
	v_cmp_ne_u32_e64 s3, 0, v6
	v_lshrrev_b32_e32 v6, 16, v29
	v_cndmask_b32_e64 v14, v14, v17, s4
	v_cndmask_b32_e64 v17, 0, 1, vcc_lo
	v_cndmask_b32_e64 v15, 0x7c00, v15, s2
	v_cmp_eq_u32_e32 vcc_lo, 0x40f, v7
	s_delay_alu instid0(VALU_DEP_3) | instskip(NEXT) | instid1(VALU_DEP_1)
	v_lshl_or_b32 v17, v17, 9, 0x7c00
	v_cndmask_b32_e32 v7, v15, v17, vcc_lo
	v_and_b32_e32 v15, 7, v14
	v_lshrrev_b32_e32 v14, 2, v14
	s_delay_alu instid0(VALU_DEP_3) | instskip(NEXT) | instid1(VALU_DEP_3)
	v_and_or_b32 v6, 0x8000, v6, v7
	v_cmp_lt_i32_e32 vcc_lo, 5, v15
	v_cmp_eq_u32_e64 s2, 3, v15
	v_cndmask_b32_e64 v15, 0, 1, s3
	s_delay_alu instid0(VALU_DEP_4) | instskip(NEXT) | instid1(VALU_DEP_3)
	v_and_b32_e32 v6, 0xffff, v6
	s_or_b32 vcc_lo, s2, vcc_lo
	s_delay_alu instid0(VALU_DEP_2) | instskip(SKIP_2) | instid1(VALU_DEP_2)
	v_lshl_or_b32 v15, v15, 9, 0x7c00
	v_add_co_ci_u32_e32 v14, vcc_lo, 0, v14, vcc_lo
	v_cmp_gt_i32_e32 vcc_lo, 31, v2
	v_cndmask_b32_e32 v14, 0x7c00, v14, vcc_lo
	v_cmp_eq_u32_e32 vcc_lo, 0x40f, v2
	s_delay_alu instid0(VALU_DEP_2) | instskip(SKIP_2) | instid1(VALU_DEP_3)
	v_cndmask_b32_e32 v2, v14, v15, vcc_lo
	v_add_co_u32 v17, vcc_lo, v20, s11
	v_add_co_ci_u32_e32 v18, vcc_lo, s10, v21, vcc_lo
	v_and_or_b32 v2, 0x8000, v11, v2
	s_delay_alu instid0(VALU_DEP_1)
	v_lshl_or_b32 v2, v2, 16, v6
	ds_load_2addr_b32 v[6:7], v157 offset0:16 offset1:212
	global_store_b32 v[20:21], v2, off
	s_waitcnt lgkmcnt(0)
	v_lshrrev_b32_e32 v23, 16, v6
	s_waitcnt vmcnt(7)
	v_mul_f16_e32 v2, v33, v6
	s_waitcnt vmcnt(6)
	s_delay_alu instid0(VALU_DEP_1) | instskip(NEXT) | instid1(VALU_DEP_1)
	v_fma_f16 v2, v32, v23, -v2
	v_cvt_f32_f16_e32 v2, v2
	s_delay_alu instid0(VALU_DEP_1) | instskip(NEXT) | instid1(VALU_DEP_1)
	v_cvt_f64_f32_e32 v[14:15], v2
	v_mul_f64 v[14:15], v[14:15], s[6:7]
	s_delay_alu instid0(VALU_DEP_1) | instskip(SKIP_2) | instid1(VALU_DEP_3)
	v_and_or_b32 v2, 0x1ff, v15, v14
	v_lshrrev_b32_e32 v11, 8, v15
	v_bfe_u32 v20, v15, 20, 11
	v_cmp_ne_u32_e32 vcc_lo, 0, v2
	v_cndmask_b32_e64 v2, 0, 1, vcc_lo
	s_delay_alu instid0(VALU_DEP_1) | instskip(NEXT) | instid1(VALU_DEP_4)
	v_and_or_b32 v2, 0xffe, v11, v2
	v_sub_nc_u32_e32 v11, 0x3f1, v20
	v_add_nc_u32_e32 v20, 0xfffffc10, v20
	s_delay_alu instid0(VALU_DEP_3) | instskip(NEXT) | instid1(VALU_DEP_3)
	v_or_b32_e32 v14, 0x1000, v2
	v_med3_i32 v11, v11, 0, 13
	s_delay_alu instid0(VALU_DEP_1) | instskip(NEXT) | instid1(VALU_DEP_1)
	v_lshrrev_b32_e32 v21, v11, v14
	v_lshlrev_b32_e32 v11, v11, v21
	s_delay_alu instid0(VALU_DEP_1) | instskip(SKIP_1) | instid1(VALU_DEP_1)
	v_cmp_ne_u32_e32 vcc_lo, v11, v14
	v_lshrrev_b32_e32 v11, 16, v5
	v_mul_f16_e32 v14, v28, v11
	s_delay_alu instid0(VALU_DEP_1) | instskip(SKIP_2) | instid1(VALU_DEP_1)
	v_fmac_f16_e64 v14, v144, v5
	v_mul_f16_e32 v5, v28, v5
	v_cvt_f64_f32_e32 v[27:28], v9
	v_mul_f64 v[27:28], v[27:28], s[6:7]
	s_delay_alu instid0(VALU_DEP_1) | instskip(SKIP_1) | instid1(VALU_DEP_2)
	v_and_or_b32 v9, 0x1ff, v28, v27
	v_lshrrev_b32_e32 v27, 8, v28
	v_cmp_ne_u32_e64 s2, 0, v9
	s_delay_alu instid0(VALU_DEP_1) | instskip(NEXT) | instid1(VALU_DEP_1)
	v_cndmask_b32_e64 v9, 0, 1, s2
	v_and_or_b32 v9, 0xffe, v27, v9
	v_bfe_u32 v27, v28, 20, 11
	s_delay_alu instid0(VALU_DEP_2) | instskip(NEXT) | instid1(VALU_DEP_2)
	v_or_b32_e32 v30, 0x1000, v9
	v_sub_nc_u32_e32 v29, 0x3f1, v27
	v_add_nc_u32_e32 v27, 0xfffffc10, v27
	v_cmp_ne_u32_e64 s3, 0, v9
	s_delay_alu instid0(VALU_DEP_3) | instskip(NEXT) | instid1(VALU_DEP_1)
	v_med3_i32 v29, v29, 0, 13
	v_lshrrev_b32_e32 v31, v29, v30
	s_delay_alu instid0(VALU_DEP_1) | instskip(NEXT) | instid1(VALU_DEP_1)
	v_lshlrev_b32_e32 v29, v29, v31
	v_cmp_ne_u32_e64 s2, v29, v30
	v_lshl_or_b32 v30, v27, 12, v9
	s_delay_alu instid0(VALU_DEP_2) | instskip(SKIP_1) | instid1(VALU_DEP_2)
	v_cndmask_b32_e64 v29, 0, 1, s2
	v_cmp_gt_i32_e64 s2, 1, v27
	v_or_b32_e32 v29, v31, v29
	scratch_load_b32 v31, off, off offset:108 ; 4-byte Folded Reload
	v_cndmask_b32_e64 v29, v30, v29, s2
	v_cndmask_b32_e64 v30, 0, 1, s0
	v_cmp_gt_i32_e64 s0, 1, v24
	s_delay_alu instid0(VALU_DEP_2) | instskip(SKIP_1) | instid1(VALU_DEP_1)
	v_or_b32_e32 v26, v26, v30
	v_lshl_or_b32 v30, v24, 12, v19
	v_cndmask_b32_e64 v26, v30, v26, s0
	v_and_b32_e32 v30, 7, v29
	s_delay_alu instid0(VALU_DEP_2) | instskip(NEXT) | instid1(VALU_DEP_2)
	v_and_b32_e32 v9, 7, v26
	v_cmp_lt_i32_e64 s0, 5, v30
	v_cmp_eq_u32_e64 s2, 3, v30
	v_lshrrev_b32_e32 v30, 16, v137
	s_delay_alu instid0(VALU_DEP_4) | instskip(SKIP_4) | instid1(VALU_DEP_3)
	v_cmp_lt_i32_e64 s4, 5, v9
	v_cmp_eq_u32_e64 s5, 3, v9
	v_lshrrev_b32_e32 v9, 2, v29
	s_or_b32 s0, s2, s0
	v_cndmask_b32_e64 v29, 0, 1, s3
	s_or_b32 s2, s5, s4
	s_delay_alu instid0(VALU_DEP_2) | instskip(SKIP_1) | instid1(VALU_DEP_3)
	v_add_co_ci_u32_e64 v9, s0, 0, v9, s0
	v_cmp_gt_i32_e64 s0, 31, v27
	v_lshl_or_b32 v29, v29, 9, 0x7c00
	s_delay_alu instid0(VALU_DEP_2) | instskip(SKIP_2) | instid1(VALU_DEP_2)
	v_cndmask_b32_e64 v9, 0x7c00, v9, s0
	v_cmp_eq_u32_e64 s0, 0x40f, v27
	v_lshrrev_b32_e32 v27, 16, v28
	v_cndmask_b32_e64 v9, v9, v29, s0
	v_cmp_ne_u32_e64 s0, 0, v19
	v_lshrrev_b32_e32 v19, 2, v26
	s_delay_alu instid0(VALU_DEP_3) | instskip(NEXT) | instid1(VALU_DEP_3)
	v_and_or_b32 v9, 0x8000, v27, v9
	v_cndmask_b32_e64 v26, 0, 1, s0
	s_delay_alu instid0(VALU_DEP_3) | instskip(SKIP_2) | instid1(VALU_DEP_4)
	v_add_co_ci_u32_e64 v19, s2, 0, v19, s2
	v_cmp_gt_i32_e64 s2, 31, v24
	v_cmp_eq_u32_e64 s0, 0x40f, v24
	v_lshl_or_b32 v26, v26, 9, 0x7c00
	v_and_b32_e32 v9, 0xffff, v9
	s_delay_alu instid0(VALU_DEP_4) | instskip(NEXT) | instid1(VALU_DEP_1)
	v_cndmask_b32_e64 v19, 0x7c00, v19, s2
	v_cndmask_b32_e64 v19, v19, v26, s0
	s_delay_alu instid0(VALU_DEP_1) | instskip(NEXT) | instid1(VALU_DEP_1)
	v_and_or_b32 v16, 0x8000, v16, v19
	v_lshl_or_b32 v9, v16, 16, v9
	v_add_co_u32 v16, s0, v17, s11
	global_store_b32 v[17:18], v9, off
	v_fma_f16 v9, v144, v11, -v5
	v_cvt_f64_f32_e32 v[4:5], v0
	v_add_co_ci_u32_e64 v17, s0, s10, v18, s0
	s_delay_alu instid0(VALU_DEP_2) | instskip(NEXT) | instid1(VALU_DEP_1)
	v_mul_f64 v[4:5], v[4:5], s[6:7]
	v_and_or_b32 v0, 0x1ff, v5, v4
	v_lshrrev_b32_e32 v4, 8, v5
	s_delay_alu instid0(VALU_DEP_2) | instskip(NEXT) | instid1(VALU_DEP_1)
	v_cmp_ne_u32_e64 s0, 0, v0
	v_cndmask_b32_e64 v0, 0, 1, s0
	s_delay_alu instid0(VALU_DEP_1) | instskip(SKIP_1) | instid1(VALU_DEP_2)
	v_and_or_b32 v0, 0xffe, v4, v0
	v_bfe_u32 v4, v5, 20, 11
	v_or_b32_e32 v18, 0x1000, v0
	s_delay_alu instid0(VALU_DEP_2) | instskip(SKIP_2) | instid1(VALU_DEP_3)
	v_sub_nc_u32_e32 v11, 0x3f1, v4
	v_add_nc_u32_e32 v4, 0xfffffc10, v4
	v_cmp_ne_u32_e64 s2, 0, v0
	v_med3_i32 v11, v11, 0, 13
	s_delay_alu instid0(VALU_DEP_1) | instskip(NEXT) | instid1(VALU_DEP_1)
	v_lshrrev_b32_e32 v19, v11, v18
	v_lshlrev_b32_e32 v11, v11, v19
	s_delay_alu instid0(VALU_DEP_1) | instskip(SKIP_1) | instid1(VALU_DEP_2)
	v_cmp_ne_u32_e64 s0, v11, v18
	v_lshl_or_b32 v18, v4, 12, v0
	v_cndmask_b32_e64 v11, 0, 1, s0
	v_cmp_gt_i32_e64 s0, 1, v4
	s_delay_alu instid0(VALU_DEP_2) | instskip(SKIP_1) | instid1(VALU_DEP_2)
	v_or_b32_e32 v11, v19, v11
	v_add_nc_u32_e32 v19, 0xfffffc10, v22
	v_cndmask_b32_e64 v11, v18, v11, s0
	v_cndmask_b32_e64 v18, 0, 1, s1
	s_delay_alu instid0(VALU_DEP_3) | instskip(SKIP_1) | instid1(VALU_DEP_3)
	v_lshl_or_b32 v22, v19, 12, v12
	v_cmp_gt_i32_e64 s0, 1, v19
	v_or_b32_e32 v18, v25, v18
	s_delay_alu instid0(VALU_DEP_1) | instskip(SKIP_1) | instid1(VALU_DEP_2)
	v_cndmask_b32_e64 v18, v22, v18, s0
	v_and_b32_e32 v22, 7, v11
	v_and_b32_e32 v0, 7, v18
	s_delay_alu instid0(VALU_DEP_2) | instskip(SKIP_1) | instid1(VALU_DEP_3)
	v_cmp_lt_i32_e64 s0, 5, v22
	v_cmp_eq_u32_e64 s1, 3, v22
	v_cmp_lt_i32_e64 s3, 5, v0
	v_cmp_eq_u32_e64 s4, 3, v0
	v_lshrrev_b32_e32 v0, 2, v11
	s_delay_alu instid0(VALU_DEP_4) | instskip(SKIP_1) | instid1(VALU_DEP_3)
	s_or_b32 s0, s1, s0
	v_cndmask_b32_e64 v11, 0, 1, s2
	s_or_b32 s1, s4, s3
	s_delay_alu instid0(VALU_DEP_2) | instskip(SKIP_1) | instid1(VALU_DEP_3)
	v_add_co_ci_u32_e64 v0, s0, 0, v0, s0
	v_cmp_gt_i32_e64 s0, 31, v4
	v_lshl_or_b32 v11, v11, 9, 0x7c00
	s_delay_alu instid0(VALU_DEP_2) | instskip(SKIP_3) | instid1(VALU_DEP_3)
	v_cndmask_b32_e64 v0, 0x7c00, v0, s0
	v_cmp_eq_u32_e64 s0, 0x40f, v4
	v_lshrrev_b32_e32 v4, 16, v5
	v_lshrrev_b32_e32 v5, 2, v18
	v_cndmask_b32_e64 v0, v0, v11, s0
	v_cmp_ne_u32_e64 s0, 0, v12
	s_delay_alu instid0(VALU_DEP_3) | instskip(SKIP_1) | instid1(VALU_DEP_4)
	v_add_co_ci_u32_e64 v5, s1, 0, v5, s1
	v_cmp_gt_i32_e64 s1, 31, v19
	v_and_or_b32 v0, 0x8000, v4, v0
	s_delay_alu instid0(VALU_DEP_4)
	v_cndmask_b32_e64 v11, 0, 1, s0
	v_cmp_eq_u32_e64 s0, 0x40f, v19
	v_lshrrev_b32_e32 v19, 16, v139
	v_cndmask_b32_e64 v5, 0x7c00, v5, s1
	v_and_b32_e32 v0, 0xffff, v0
	v_lshl_or_b32 v11, v11, 9, 0x7c00
	s_delay_alu instid0(VALU_DEP_1) | instskip(SKIP_2) | instid1(VALU_DEP_1)
	v_cndmask_b32_e64 v5, v5, v11, s0
	v_lshrrev_b32_e32 v11, 16, v13
	v_add_co_u32 v25, s0, v16, s11
	v_add_co_ci_u32_e64 v26, s0, s10, v17, s0
	s_delay_alu instid0(VALU_DEP_3) | instskip(NEXT) | instid1(VALU_DEP_1)
	v_and_or_b32 v4, 0x8000, v11, v5
	v_lshl_or_b32 v0, v4, 16, v0
	ds_load_2addr_b32 v[4:5], v151 offset0:32 offset1:228
	global_store_b32 v[16:17], v0, off
	s_waitcnt lgkmcnt(0)
	v_lshrrev_b32_e32 v18, 16, v4
	v_mul_f16_e32 v0, v30, v4
	s_delay_alu instid0(VALU_DEP_1) | instskip(SKIP_4) | instid1(VALU_DEP_2)
	v_fma_f16 v0, v137, v18, -v0
	v_mul_f16_e32 v18, v30, v18
	scratch_load_b32 v30, off, off offset:92 ; 4-byte Folded Reload
	v_cvt_f32_f16_e32 v0, v0
	v_fmac_f16_e64 v18, v137, v4
	v_cvt_f64_f32_e32 v[11:12], v0
	s_delay_alu instid0(VALU_DEP_2) | instskip(NEXT) | instid1(VALU_DEP_2)
	v_cvt_f32_f16_e32 v4, v18
	v_mul_f64 v[11:12], v[11:12], s[6:7]
	s_delay_alu instid0(VALU_DEP_1) | instskip(SKIP_2) | instid1(VALU_DEP_3)
	v_and_or_b32 v0, 0x1ff, v12, v11
	v_lshrrev_b32_e32 v11, 8, v12
	v_bfe_u32 v16, v12, 20, 11
	v_cmp_ne_u32_e64 s0, 0, v0
	s_delay_alu instid0(VALU_DEP_1) | instskip(NEXT) | instid1(VALU_DEP_1)
	v_cndmask_b32_e64 v0, 0, 1, s0
	v_and_or_b32 v0, 0xffe, v11, v0
	s_delay_alu instid0(VALU_DEP_4) | instskip(NEXT) | instid1(VALU_DEP_2)
	v_sub_nc_u32_e32 v11, 0x3f1, v16
	v_or_b32_e32 v13, 0x1000, v0
	s_delay_alu instid0(VALU_DEP_2) | instskip(NEXT) | instid1(VALU_DEP_1)
	v_med3_i32 v11, v11, 0, 13
	v_lshrrev_b32_e32 v17, v11, v13
	s_delay_alu instid0(VALU_DEP_1) | instskip(NEXT) | instid1(VALU_DEP_1)
	v_lshlrev_b32_e32 v11, v11, v17
	v_cmp_ne_u32_e64 s0, v11, v13
	v_lshrrev_b32_e32 v13, 16, v8
	s_delay_alu instid0(VALU_DEP_1) | instskip(SKIP_1) | instid1(VALU_DEP_2)
	v_mul_f16_e32 v11, v19, v13
	v_mul_f16_e32 v19, v19, v8
	v_fmac_f16_e64 v11, v139, v8
	v_cvt_f32_f16_e32 v8, v9
	s_delay_alu instid0(VALU_DEP_3) | instskip(NEXT) | instid1(VALU_DEP_2)
	v_fma_f16 v13, v139, v13, -v19
	v_cvt_f64_f32_e32 v[8:9], v8
	s_delay_alu instid0(VALU_DEP_1) | instskip(NEXT) | instid1(VALU_DEP_1)
	v_mul_f64 v[8:9], v[8:9], s[6:7]
	v_and_or_b32 v8, 0x1ff, v9, v8
	v_lshrrev_b32_e32 v19, 8, v9
	v_bfe_u32 v22, v9, 20, 11
	v_lshrrev_b32_e32 v9, 16, v9
	s_delay_alu instid0(VALU_DEP_4) | instskip(NEXT) | instid1(VALU_DEP_1)
	v_cmp_ne_u32_e64 s1, 0, v8
	v_cndmask_b32_e64 v8, 0, 1, s1
	s_delay_alu instid0(VALU_DEP_1) | instskip(SKIP_1) | instid1(VALU_DEP_2)
	v_and_or_b32 v19, 0xffe, v19, v8
	v_sub_nc_u32_e32 v8, 0x3f1, v22
	v_or_b32_e32 v27, 0x1000, v19
	s_delay_alu instid0(VALU_DEP_2) | instskip(NEXT) | instid1(VALU_DEP_1)
	v_med3_i32 v8, v8, 0, 13
	v_lshrrev_b32_e32 v24, v8, v27
	s_delay_alu instid0(VALU_DEP_1) | instskip(NEXT) | instid1(VALU_DEP_1)
	v_lshlrev_b32_e32 v8, v8, v24
	v_cmp_ne_u32_e64 s1, v8, v27
	v_mul_f16_e32 v8, v33, v23
	s_delay_alu instid0(VALU_DEP_1) | instskip(NEXT) | instid1(VALU_DEP_1)
	v_fmac_f16_e32 v8, v32, v6
	v_cvt_f32_f16_e32 v6, v8
	s_delay_alu instid0(VALU_DEP_1) | instskip(NEXT) | instid1(VALU_DEP_1)
	v_cvt_f64_f32_e32 v[27:28], v6
	v_mul_f64 v[27:28], v[27:28], s[6:7]
	s_delay_alu instid0(VALU_DEP_1) | instskip(SKIP_1) | instid1(VALU_DEP_2)
	v_and_or_b32 v6, 0x1ff, v28, v27
	v_lshrrev_b32_e32 v8, 8, v28
	v_cmp_ne_u32_e64 s2, 0, v6
	s_delay_alu instid0(VALU_DEP_1) | instskip(NEXT) | instid1(VALU_DEP_1)
	v_cndmask_b32_e64 v6, 0, 1, s2
	v_and_or_b32 v6, 0xffe, v8, v6
	v_bfe_u32 v8, v28, 20, 11
	s_delay_alu instid0(VALU_DEP_2) | instskip(NEXT) | instid1(VALU_DEP_2)
	v_or_b32_e32 v27, 0x1000, v6
	v_sub_nc_u32_e32 v23, 0x3f1, v8
	v_add_nc_u32_e32 v8, 0xfffffc10, v8
	v_cmp_ne_u32_e64 s4, 0, v6
	s_delay_alu instid0(VALU_DEP_3) | instskip(NEXT) | instid1(VALU_DEP_1)
	v_med3_i32 v23, v23, 0, 13
	v_lshrrev_b32_e32 v29, v23, v27
	s_delay_alu instid0(VALU_DEP_1) | instskip(NEXT) | instid1(VALU_DEP_1)
	v_lshlrev_b32_e32 v23, v23, v29
	v_cmp_ne_u32_e64 s2, v23, v27
	v_lshl_or_b32 v27, v8, 12, v6
	v_cndmask_b32_e64 v6, 0, 1, vcc_lo
	v_cmp_gt_i32_e32 vcc_lo, 1, v20
	s_delay_alu instid0(VALU_DEP_4) | instskip(SKIP_1) | instid1(VALU_DEP_4)
	v_cndmask_b32_e64 v23, 0, 1, s2
	v_cmp_gt_i32_e64 s2, 1, v8
	v_or_b32_e32 v6, v21, v6
	v_lshl_or_b32 v21, v20, 12, v2
	s_delay_alu instid0(VALU_DEP_4) | instskip(NEXT) | instid1(VALU_DEP_2)
	v_or_b32_e32 v23, v29, v23
	v_cndmask_b32_e32 v6, v21, v6, vcc_lo
	s_delay_alu instid0(VALU_DEP_2) | instskip(NEXT) | instid1(VALU_DEP_1)
	v_cndmask_b32_e64 v23, v27, v23, s2
	v_and_b32_e32 v27, 7, v23
	v_lshrrev_b32_e32 v21, 2, v23
	v_cndmask_b32_e64 v23, 0, 1, s4
	s_delay_alu instid0(VALU_DEP_3) | instskip(SKIP_1) | instid1(VALU_DEP_3)
	v_cmp_lt_i32_e64 s2, 5, v27
	v_cmp_eq_u32_e64 s3, 3, v27
	v_lshl_or_b32 v23, v23, 9, 0x7c00
	v_lshrrev_b32_e32 v27, 16, v10
	s_delay_alu instid0(VALU_DEP_3) | instskip(SKIP_4) | instid1(VALU_DEP_3)
	s_or_b32 vcc_lo, s3, s2
	v_cmp_ne_u32_e64 s3, 0, v2
	v_add_co_ci_u32_e32 v21, vcc_lo, 0, v21, vcc_lo
	v_cmp_gt_i32_e32 vcc_lo, 31, v8
	v_lshrrev_b32_e32 v2, 2, v6
	v_cndmask_b32_e32 v21, 0x7c00, v21, vcc_lo
	v_cmp_eq_u32_e32 vcc_lo, 0x40f, v8
	s_delay_alu instid0(VALU_DEP_2) | instskip(SKIP_2) | instid1(VALU_DEP_3)
	v_dual_cndmask_b32 v8, v21, v23 :: v_dual_and_b32 v23, 7, v6
	v_cndmask_b32_e64 v6, 0, 1, s3
	v_lshrrev_b32_e32 v21, 16, v28
	v_cmp_lt_i32_e32 vcc_lo, 5, v23
	v_cmp_eq_u32_e64 s2, 3, v23
	s_delay_alu instid0(VALU_DEP_4) | instskip(NEXT) | instid1(VALU_DEP_4)
	v_lshl_or_b32 v6, v6, 9, 0x7c00
	v_and_or_b32 v8, 0x8000, v21, v8
	s_delay_alu instid0(VALU_DEP_3) | instskip(SKIP_2) | instid1(VALU_DEP_2)
	s_or_b32 vcc_lo, s2, vcc_lo
	v_add_co_ci_u32_e32 v2, vcc_lo, 0, v2, vcc_lo
	v_cmp_gt_i32_e32 vcc_lo, 31, v20
	v_cndmask_b32_e32 v2, 0x7c00, v2, vcc_lo
	v_cmp_eq_u32_e32 vcc_lo, 0x40f, v20
	s_delay_alu instid0(VALU_DEP_2) | instskip(SKIP_3) | instid1(VALU_DEP_3)
	v_cndmask_b32_e32 v2, v2, v6, vcc_lo
	v_lshrrev_b32_e32 v6, 16, v15
	v_add_co_u32 v20, vcc_lo, v25, s11
	v_add_co_ci_u32_e32 v21, vcc_lo, s10, v26, vcc_lo
	v_and_or_b32 v2, 0x8000, v6, v2
	v_and_b32_e32 v6, 0xffff, v8
	v_lshrrev_b32_e32 v8, 16, v140
	s_delay_alu instid0(VALU_DEP_2) | instskip(SKIP_2) | instid1(VALU_DEP_1)
	v_lshl_or_b32 v2, v2, 16, v6
	global_store_b32 v[25:26], v2, off
	v_lshrrev_b32_e32 v2, 16, v3
	v_mul_f16_e32 v6, v8, v2
	v_mul_f16_e32 v8, v8, v3
	s_delay_alu instid0(VALU_DEP_2) | instskip(NEXT) | instid1(VALU_DEP_2)
	v_fmac_f16_e64 v6, v140, v3
	v_fma_f16 v23, v140, v2, -v8
	v_cvt_f32_f16_e32 v2, v13
	s_delay_alu instid0(VALU_DEP_1) | instskip(NEXT) | instid1(VALU_DEP_1)
	v_cvt_f64_f32_e32 v[2:3], v2
	v_mul_f64 v[2:3], v[2:3], s[6:7]
	s_delay_alu instid0(VALU_DEP_1) | instskip(SKIP_3) | instid1(VALU_DEP_4)
	v_and_or_b32 v2, 0x1ff, v3, v2
	v_lshrrev_b32_e32 v8, 8, v3
	v_bfe_u32 v13, v3, 20, 11
	v_lshrrev_b32_e32 v3, 16, v3
	v_cmp_ne_u32_e32 vcc_lo, 0, v2
	v_cndmask_b32_e64 v2, 0, 1, vcc_lo
	s_delay_alu instid0(VALU_DEP_1) | instskip(SKIP_2) | instid1(VALU_DEP_3)
	v_and_or_b32 v8, 0xffe, v8, v2
	v_sub_nc_u32_e32 v2, 0x3f1, v13
	v_add_nc_u32_e32 v13, 0xfffffc10, v13
	v_or_b32_e32 v25, 0x1000, v8
	s_delay_alu instid0(VALU_DEP_3) | instskip(NEXT) | instid1(VALU_DEP_1)
	v_med3_i32 v2, v2, 0, 13
	v_lshrrev_b32_e32 v15, v2, v25
	s_delay_alu instid0(VALU_DEP_1) | instskip(NEXT) | instid1(VALU_DEP_1)
	v_lshlrev_b32_e32 v2, v2, v15
	v_cmp_ne_u32_e32 vcc_lo, v2, v25
	v_lshrrev_b32_e32 v25, 16, v195
	s_delay_alu instid0(VALU_DEP_1) | instskip(NEXT) | instid1(VALU_DEP_1)
	v_mul_f16_e32 v2, v25, v27
	v_fmac_f16_e64 v2, v195, v10
	v_mul_f16_e32 v10, v25, v10
	v_cvt_f64_f32_e32 v[25:26], v4
	s_delay_alu instid0(VALU_DEP_3) | instskip(NEXT) | instid1(VALU_DEP_2)
	v_cvt_f32_f16_e32 v2, v2
	v_mul_f64 v[25:26], v[25:26], s[6:7]
	s_delay_alu instid0(VALU_DEP_1) | instskip(SKIP_1) | instid1(VALU_DEP_2)
	v_and_or_b32 v4, 0x1ff, v26, v25
	v_lshrrev_b32_e32 v18, 8, v26
	v_cmp_ne_u32_e64 s2, 0, v4
	s_delay_alu instid0(VALU_DEP_1) | instskip(NEXT) | instid1(VALU_DEP_1)
	v_cndmask_b32_e64 v4, 0, 1, s2
	v_and_or_b32 v4, 0xffe, v18, v4
	v_bfe_u32 v18, v26, 20, 11
	s_delay_alu instid0(VALU_DEP_2) | instskip(NEXT) | instid1(VALU_DEP_2)
	v_or_b32_e32 v28, 0x1000, v4
	v_sub_nc_u32_e32 v25, 0x3f1, v18
	v_add_nc_u32_e32 v18, 0xfffffc10, v18
	s_delay_alu instid0(VALU_DEP_2) | instskip(NEXT) | instid1(VALU_DEP_1)
	v_med3_i32 v25, v25, 0, 13
	v_lshrrev_b32_e32 v29, v25, v28
	s_delay_alu instid0(VALU_DEP_1) | instskip(NEXT) | instid1(VALU_DEP_1)
	v_lshlrev_b32_e32 v25, v25, v29
	v_cmp_ne_u32_e64 s2, v25, v28
	v_lshl_or_b32 v28, v18, 12, v4
	s_delay_alu instid0(VALU_DEP_2) | instskip(SKIP_1) | instid1(VALU_DEP_2)
	v_cndmask_b32_e64 v25, 0, 1, s2
	v_cmp_gt_i32_e64 s2, 1, v18
	v_or_b32_e32 v25, v29, v25
	scratch_load_b32 v29, off, off offset:88 ; 4-byte Folded Reload
	v_cndmask_b32_e64 v25, v28, v25, s2
	s_delay_alu instid0(VALU_DEP_1) | instskip(NEXT) | instid1(VALU_DEP_1)
	v_and_b32_e32 v28, 7, v25
	v_cmp_lt_i32_e64 s2, 5, v28
	v_cmp_eq_u32_e64 s3, 3, v28
	v_cndmask_b32_e64 v28, 0, 1, s0
	v_cmp_ne_u32_e64 s0, 0, v4
	v_add_nc_u32_e32 v4, 0xfffffc10, v16
	s_delay_alu instid0(VALU_DEP_4) | instskip(NEXT) | instid1(VALU_DEP_3)
	s_or_b32 s2, s3, s2
	v_or_b32_e32 v17, v17, v28
	v_cmp_ne_u32_e64 s3, 0, v0
	s_delay_alu instid0(VALU_DEP_3)
	v_lshl_or_b32 v16, v4, 12, v0
	v_cmp_gt_i32_e64 s4, 1, v4
	scratch_load_b32 v28, off, off offset:100 ; 4-byte Folded Reload
	v_cndmask_b32_e64 v16, v16, v17, s4
	v_lshrrev_b32_e32 v17, 2, v25
	v_cndmask_b32_e64 v25, 0, 1, s0
	v_cmp_eq_u32_e64 s0, 0x40f, v18
	s_delay_alu instid0(VALU_DEP_4) | instskip(NEXT) | instid1(VALU_DEP_4)
	v_lshrrev_b32_e32 v0, 2, v16
	v_add_co_ci_u32_e64 v17, s2, 0, v17, s2
	v_cmp_gt_i32_e64 s2, 31, v18
	v_lshl_or_b32 v25, v25, 9, 0x7c00
	v_and_b32_e32 v18, 7, v16
	v_cndmask_b32_e64 v16, 0, 1, s3
	s_delay_alu instid0(VALU_DEP_4) | instskip(NEXT) | instid1(VALU_DEP_3)
	v_cndmask_b32_e64 v17, 0x7c00, v17, s2
	v_cmp_eq_u32_e64 s2, 3, v18
	s_delay_alu instid0(VALU_DEP_3) | instskip(NEXT) | instid1(VALU_DEP_3)
	v_lshl_or_b32 v16, v16, 9, 0x7c00
	v_cndmask_b32_e64 v17, v17, v25, s0
	v_cmp_lt_i32_e64 s0, 5, v18
	v_lshrrev_b32_e32 v18, 16, v26
	s_delay_alu instid0(VALU_DEP_2) | instskip(SKIP_3) | instid1(VALU_DEP_1)
	s_or_b32 s0, s2, s0
	s_mul_i32 s2, s9, 0xffffb990
	v_add_co_ci_u32_e64 v0, s0, 0, v0, s0
	v_cmp_gt_i32_e64 s0, 31, v4
	v_cndmask_b32_e64 v0, 0x7c00, v0, s0
	v_cmp_eq_u32_e64 s0, 0x40f, v4
	v_lshrrev_b32_e32 v4, 16, v12
	v_and_or_b32 v12, 0x8000, v18, v17
	s_delay_alu instid0(VALU_DEP_3) | instskip(SKIP_1) | instid1(SALU_CYCLE_1)
	v_cndmask_b32_e64 v0, v0, v16, s0
	s_mul_hi_u32 s0, s8, 0xffffb990
	s_sub_i32 s9, s0, s8
	s_mulk_i32 s8, 0xb990
	s_delay_alu instid0(VALU_DEP_1) | instskip(SKIP_3) | instid1(VALU_DEP_1)
	v_and_or_b32 v0, 0x8000, v4, v0
	v_and_b32_e32 v4, 0xffff, v12
	s_add_i32 s9, s9, s2
	v_add_co_u32 v16, s0, v20, s8
	v_add_co_ci_u32_e64 v17, s0, s9, v21, s0
	s_delay_alu instid0(VALU_DEP_3)
	v_lshl_or_b32 v0, v0, 16, v4
	v_cvt_f32_f16_e32 v4, v14
	global_store_b32 v[20:21], v0, off
	v_cvt_f64_f32_e32 v[20:21], v4
	v_fma_f16 v0, v195, v27, -v10
	scratch_load_b32 v27, off, off offset:96 ; 4-byte Folded Reload
	v_cvt_f32_f16_e32 v0, v0
	v_mul_f64 v[20:21], v[20:21], s[6:7]
	s_delay_alu instid0(VALU_DEP_1) | instskip(SKIP_1) | instid1(VALU_DEP_2)
	v_and_or_b32 v4, 0x1ff, v21, v20
	v_lshrrev_b32_e32 v10, 8, v21
	v_cmp_ne_u32_e64 s0, 0, v4
	s_delay_alu instid0(VALU_DEP_1) | instskip(NEXT) | instid1(VALU_DEP_1)
	v_cndmask_b32_e64 v4, 0, 1, s0
	v_and_or_b32 v4, 0xffe, v10, v4
	v_bfe_u32 v10, v21, 20, 11
	s_delay_alu instid0(VALU_DEP_2) | instskip(NEXT) | instid1(VALU_DEP_2)
	v_or_b32_e32 v14, 0x1000, v4
	v_sub_nc_u32_e32 v12, 0x3f1, v10
	v_add_nc_u32_e32 v10, 0xfffffc10, v10
	s_delay_alu instid0(VALU_DEP_2) | instskip(NEXT) | instid1(VALU_DEP_1)
	v_med3_i32 v12, v12, 0, 13
	v_lshrrev_b32_e32 v18, v12, v14
	s_delay_alu instid0(VALU_DEP_1) | instskip(NEXT) | instid1(VALU_DEP_1)
	v_lshlrev_b32_e32 v12, v12, v18
	v_cmp_ne_u32_e64 s0, v12, v14
	v_lshl_or_b32 v14, v10, 12, v4
	s_delay_alu instid0(VALU_DEP_2) | instskip(SKIP_1) | instid1(VALU_DEP_2)
	v_cndmask_b32_e64 v12, 0, 1, s0
	v_cmp_gt_i32_e64 s0, 1, v10
	v_or_b32_e32 v12, v18, v12
	s_delay_alu instid0(VALU_DEP_1) | instskip(NEXT) | instid1(VALU_DEP_1)
	v_cndmask_b32_e64 v12, v14, v12, s0
	v_and_b32_e32 v14, 7, v12
	v_lshrrev_b32_e32 v12, 2, v12
	s_delay_alu instid0(VALU_DEP_2) | instskip(SKIP_4) | instid1(VALU_DEP_4)
	v_cmp_lt_i32_e64 s0, 5, v14
	v_cmp_eq_u32_e64 s2, 3, v14
	v_cndmask_b32_e64 v14, 0, 1, s1
	v_cmp_ne_u32_e64 s1, 0, v4
	v_add_nc_u32_e32 v4, 0xfffffc10, v22
	s_or_b32 s0, s2, s0
	s_delay_alu instid0(VALU_DEP_3) | instskip(SKIP_1) | instid1(VALU_DEP_3)
	v_or_b32_e32 v14, v24, v14
	v_add_co_ci_u32_e64 v12, s0, 0, v12, s0
	v_lshl_or_b32 v18, v4, 12, v19
	v_cmp_gt_i32_e64 s3, 1, v4
	v_cmp_gt_i32_e64 s0, 31, v10
	v_cmp_ne_u32_e64 s2, 0, v19
	scratch_load_b32 v24, off, off offset:120 ; 4-byte Folded Reload
	v_cndmask_b32_e64 v14, v18, v14, s3
	v_cndmask_b32_e64 v18, 0, 1, s1
	;; [unrolled: 1-line block ×3, first 2 shown]
	v_cmp_eq_u32_e64 s0, 0x40f, v10
	s_delay_alu instid0(VALU_DEP_3) | instskip(NEXT) | instid1(VALU_DEP_1)
	v_lshl_or_b32 v18, v18, 9, 0x7c00
	v_cndmask_b32_e64 v10, v12, v18, s0
	v_and_b32_e32 v12, 7, v14
	v_lshrrev_b32_e32 v14, 2, v14
	v_cndmask_b32_e64 v18, 0, 1, s2
	s_delay_alu instid0(VALU_DEP_3) | instskip(SKIP_2) | instid1(VALU_DEP_4)
	v_cmp_lt_i32_e64 s0, 5, v12
	v_cmp_eq_u32_e64 s1, 3, v12
	v_lshrrev_b32_e32 v12, 16, v21
	v_lshl_or_b32 v18, v18, 9, 0x7c00
	scratch_load_b32 v21, off, off offset:124 ; 4-byte Folded Reload
	s_or_b32 s0, s1, s0
	v_and_or_b32 v10, 0x8000, v12, v10
	v_add_co_ci_u32_e64 v14, s0, 0, v14, s0
	v_cmp_gt_i32_e64 s0, 31, v4
	scratch_load_b32 v12, off, off offset:128 ; 4-byte Folded Reload
	v_cndmask_b32_e64 v14, 0x7c00, v14, s0
	v_cmp_eq_u32_e64 s0, 0x40f, v4
	s_delay_alu instid0(VALU_DEP_1) | instskip(NEXT) | instid1(VALU_DEP_1)
	v_cndmask_b32_e64 v4, v14, v18, s0
	v_and_or_b32 v4, 0x8000, v9, v4
	v_and_b32_e32 v9, 0xffff, v10
	s_delay_alu instid0(VALU_DEP_1) | instskip(SKIP_3) | instid1(VALU_DEP_1)
	v_lshl_or_b32 v4, v4, 16, v9
	global_store_b32 v[16:17], v4, off
	v_cvt_f32_f16_e32 v4, v23
	v_add_co_u32 v16, s0, v16, s11
	v_add_co_ci_u32_e64 v17, s0, s10, v17, s0
	s_delay_alu instid0(VALU_DEP_3) | instskip(NEXT) | instid1(VALU_DEP_1)
	v_cvt_f64_f32_e32 v[9:10], v4
	v_mul_f64 v[18:19], v[9:10], s[6:7]
	scratch_load_b32 v10, off, off offset:132 ; 4-byte Folded Reload
	v_and_or_b32 v4, 0x1ff, v19, v18
	v_lshrrev_b32_e32 v9, 8, v19
	v_bfe_u32 v22, v19, 20, 11
	s_delay_alu instid0(VALU_DEP_3) | instskip(NEXT) | instid1(VALU_DEP_1)
	v_cmp_ne_u32_e64 s0, 0, v4
	v_cndmask_b32_e64 v4, 0, 1, s0
	s_delay_alu instid0(VALU_DEP_1) | instskip(NEXT) | instid1(VALU_DEP_4)
	v_and_or_b32 v18, 0xffe, v9, v4
	v_sub_nc_u32_e32 v4, 0x3f1, v22
	s_delay_alu instid0(VALU_DEP_2) | instskip(NEXT) | instid1(VALU_DEP_2)
	v_or_b32_e32 v9, 0x1000, v18
	v_med3_i32 v4, v4, 0, 13
	s_delay_alu instid0(VALU_DEP_1) | instskip(NEXT) | instid1(VALU_DEP_1)
	v_lshrrev_b32_e32 v23, v4, v9
	v_lshlrev_b32_e32 v4, v4, v23
	s_delay_alu instid0(VALU_DEP_1) | instskip(SKIP_2) | instid1(VALU_DEP_1)
	v_cmp_ne_u32_e64 s1, v4, v9
	v_lshrrev_b32_e32 v9, 16, v1
	s_waitcnt vmcnt(0)
	v_mul_f16_e32 v4, v10, v9
	v_mul_f16_e32 v10, v10, v1
	s_delay_alu instid0(VALU_DEP_2) | instskip(SKIP_1) | instid1(VALU_DEP_3)
	v_fmac_f16_e32 v4, v12, v1
	v_cvt_f64_f32_e32 v[0:1], v0
	v_fma_f16 v14, v12, v9, -v10
	s_delay_alu instid0(VALU_DEP_2) | instskip(NEXT) | instid1(VALU_DEP_1)
	v_mul_f64 v[0:1], v[0:1], s[6:7]
	v_and_or_b32 v0, 0x1ff, v1, v0
	v_lshrrev_b32_e32 v9, 8, v1
	v_bfe_u32 v10, v1, 20, 11
	v_lshrrev_b32_e32 v1, 16, v1
	s_delay_alu instid0(VALU_DEP_4) | instskip(NEXT) | instid1(VALU_DEP_1)
	v_cmp_ne_u32_e64 s0, 0, v0
	v_cndmask_b32_e64 v0, 0, 1, s0
	s_delay_alu instid0(VALU_DEP_1) | instskip(SKIP_2) | instid1(VALU_DEP_3)
	v_and_or_b32 v9, 0xffe, v9, v0
	v_sub_nc_u32_e32 v0, 0x3f1, v10
	v_add_nc_u32_e32 v10, 0xfffffc10, v10
	v_or_b32_e32 v20, 0x1000, v9
	s_delay_alu instid0(VALU_DEP_3) | instskip(NEXT) | instid1(VALU_DEP_1)
	v_med3_i32 v0, v0, 0, 13
	v_lshrrev_b32_e32 v12, v0, v20
	s_delay_alu instid0(VALU_DEP_1) | instskip(NEXT) | instid1(VALU_DEP_1)
	v_lshlrev_b32_e32 v0, v0, v12
	v_cmp_ne_u32_e64 s0, v0, v20
	v_lshrrev_b32_e32 v20, 16, v7
	s_delay_alu instid0(VALU_DEP_1) | instskip(SKIP_1) | instid1(VALU_DEP_2)
	v_mul_f16_e32 v0, v21, v20
	v_mul_f16_e32 v21, v21, v7
	v_fmac_f16_e32 v0, v24, v7
	v_cvt_f32_f16_e32 v7, v11
	s_delay_alu instid0(VALU_DEP_3) | instskip(NEXT) | instid1(VALU_DEP_3)
	v_fma_f16 v24, v24, v20, -v21
	v_cvt_f32_f16_e32 v0, v0
	s_delay_alu instid0(VALU_DEP_3) | instskip(NEXT) | instid1(VALU_DEP_1)
	v_cvt_f64_f32_e32 v[20:21], v7
	v_mul_f64 v[20:21], v[20:21], s[6:7]
	s_delay_alu instid0(VALU_DEP_1) | instskip(SKIP_1) | instid1(VALU_DEP_2)
	v_and_or_b32 v7, 0x1ff, v21, v20
	v_lshrrev_b32_e32 v11, 8, v21
	v_cmp_ne_u32_e64 s2, 0, v7
	s_delay_alu instid0(VALU_DEP_1) | instskip(NEXT) | instid1(VALU_DEP_1)
	v_cndmask_b32_e64 v7, 0, 1, s2
	v_and_or_b32 v7, 0xffe, v11, v7
	v_bfe_u32 v11, v21, 20, 11
	s_delay_alu instid0(VALU_DEP_2) | instskip(NEXT) | instid1(VALU_DEP_2)
	v_or_b32_e32 v25, 0x1000, v7
	v_sub_nc_u32_e32 v20, 0x3f1, v11
	v_add_nc_u32_e32 v11, 0xfffffc10, v11
	v_cmp_ne_u32_e64 s4, 0, v7
	s_delay_alu instid0(VALU_DEP_3) | instskip(NEXT) | instid1(VALU_DEP_1)
	v_med3_i32 v20, v20, 0, 13
	v_lshrrev_b32_e32 v26, v20, v25
	s_delay_alu instid0(VALU_DEP_1) | instskip(NEXT) | instid1(VALU_DEP_1)
	v_lshlrev_b32_e32 v20, v20, v26
	v_cmp_ne_u32_e64 s2, v20, v25
	v_lshl_or_b32 v25, v11, 12, v7
	v_cndmask_b32_e64 v7, 0, 1, vcc_lo
	v_cmp_gt_i32_e32 vcc_lo, 1, v13
	s_delay_alu instid0(VALU_DEP_4) | instskip(SKIP_1) | instid1(VALU_DEP_4)
	v_cndmask_b32_e64 v20, 0, 1, s2
	v_cmp_gt_i32_e64 s2, 1, v11
	v_or_b32_e32 v7, v15, v7
	v_lshl_or_b32 v15, v13, 12, v8
	s_delay_alu instid0(VALU_DEP_4) | instskip(SKIP_3) | instid1(VALU_DEP_1)
	v_or_b32_e32 v20, v26, v20
	scratch_load_b32 v26, off, off offset:104 ; 4-byte Folded Reload
	v_cndmask_b32_e32 v7, v15, v7, vcc_lo
	v_cndmask_b32_e64 v20, v25, v20, s2
	v_and_b32_e32 v25, 7, v20
	v_lshrrev_b32_e32 v15, 2, v20
	v_cndmask_b32_e64 v20, 0, 1, s4
	s_delay_alu instid0(VALU_DEP_3) | instskip(SKIP_1) | instid1(VALU_DEP_3)
	v_cmp_lt_i32_e64 s2, 5, v25
	v_cmp_eq_u32_e64 s3, 3, v25
	v_lshl_or_b32 v20, v20, 9, 0x7c00
	s_delay_alu instid0(VALU_DEP_2) | instskip(SKIP_3) | instid1(VALU_DEP_3)
	s_or_b32 vcc_lo, s3, s2
	v_cmp_ne_u32_e64 s3, 0, v8
	v_add_co_ci_u32_e32 v15, vcc_lo, 0, v15, vcc_lo
	v_cmp_gt_i32_e32 vcc_lo, 31, v11
	v_cndmask_b32_e64 v8, 0, 1, s3
	s_delay_alu instid0(VALU_DEP_3) | instskip(SKIP_1) | instid1(VALU_DEP_3)
	v_cndmask_b32_e32 v15, 0x7c00, v15, vcc_lo
	v_cmp_eq_u32_e32 vcc_lo, 0x40f, v11
	v_lshl_or_b32 v8, v8, 9, 0x7c00
	s_delay_alu instid0(VALU_DEP_3) | instskip(SKIP_2) | instid1(VALU_DEP_3)
	v_dual_cndmask_b32 v11, v15, v20 :: v_dual_and_b32 v20, 7, v7
	v_lshrrev_b32_e32 v7, 2, v7
	v_lshrrev_b32_e32 v15, 16, v21
	v_cmp_lt_i32_e32 vcc_lo, 5, v20
	v_cmp_eq_u32_e64 s2, 3, v20
	s_delay_alu instid0(VALU_DEP_1) | instskip(SKIP_2) | instid1(VALU_DEP_2)
	s_or_b32 vcc_lo, s2, vcc_lo
	v_add_co_ci_u32_e32 v7, vcc_lo, 0, v7, vcc_lo
	v_cmp_gt_i32_e32 vcc_lo, 31, v13
	v_cndmask_b32_e32 v7, 0x7c00, v7, vcc_lo
	v_cmp_eq_u32_e32 vcc_lo, 0x40f, v13
	s_delay_alu instid0(VALU_DEP_2) | instskip(SKIP_1) | instid1(VALU_DEP_2)
	v_cndmask_b32_e32 v7, v7, v8, vcc_lo
	v_and_or_b32 v8, 0x8000, v15, v11
	v_and_or_b32 v3, 0x8000, v3, v7
	s_delay_alu instid0(VALU_DEP_2) | instskip(NEXT) | instid1(VALU_DEP_1)
	v_and_b32_e32 v7, 0xffff, v8
	v_lshl_or_b32 v3, v3, 16, v7
	v_add_co_u32 v7, vcc_lo, v16, s11
	v_add_co_ci_u32_e32 v8, vcc_lo, s10, v17, vcc_lo
	global_store_b32 v[16:17], v3, off
	v_cvt_f32_f16_e32 v3, v6
	s_delay_alu instid0(VALU_DEP_1) | instskip(NEXT) | instid1(VALU_DEP_1)
	v_cvt_f64_f32_e32 v[15:16], v3
	v_mul_f64 v[15:16], v[15:16], s[6:7]
	s_delay_alu instid0(VALU_DEP_1) | instskip(SKIP_1) | instid1(VALU_DEP_2)
	v_and_or_b32 v3, 0x1ff, v16, v15
	v_lshrrev_b32_e32 v6, 8, v16
	v_cmp_ne_u32_e32 vcc_lo, 0, v3
	v_cndmask_b32_e64 v3, 0, 1, vcc_lo
	s_delay_alu instid0(VALU_DEP_1) | instskip(SKIP_1) | instid1(VALU_DEP_2)
	v_and_or_b32 v3, 0xffe, v6, v3
	v_bfe_u32 v6, v16, 20, 11
	v_or_b32_e32 v13, 0x1000, v3
	s_delay_alu instid0(VALU_DEP_2) | instskip(SKIP_2) | instid1(VALU_DEP_3)
	v_sub_nc_u32_e32 v11, 0x3f1, v6
	v_add_nc_u32_e32 v6, 0xfffffc10, v6
	v_cmp_ne_u32_e64 s2, 0, v3
	v_med3_i32 v11, v11, 0, 13
	s_delay_alu instid0(VALU_DEP_1) | instskip(NEXT) | instid1(VALU_DEP_1)
	v_lshrrev_b32_e32 v15, v11, v13
	v_lshlrev_b32_e32 v11, v11, v15
	s_delay_alu instid0(VALU_DEP_1) | instskip(SKIP_3) | instid1(VALU_DEP_2)
	v_cmp_ne_u32_e32 vcc_lo, v11, v13
	v_lshl_or_b32 v13, v6, 12, v3
	v_cndmask_b32_e64 v11, 0, 1, vcc_lo
	v_cmp_gt_i32_e32 vcc_lo, 1, v6
	v_or_b32_e32 v11, v15, v11
	v_add_nc_u32_e32 v15, 0xfffffc10, v22
	s_delay_alu instid0(VALU_DEP_2) | instskip(SKIP_1) | instid1(VALU_DEP_3)
	v_cndmask_b32_e32 v11, v13, v11, vcc_lo
	v_cndmask_b32_e64 v13, 0, 1, s1
	v_lshl_or_b32 v17, v15, 12, v18
	v_cmp_gt_i32_e32 vcc_lo, 1, v15
	s_delay_alu instid0(VALU_DEP_3) | instskip(NEXT) | instid1(VALU_DEP_1)
	v_or_b32_e32 v13, v23, v13
	v_cndmask_b32_e32 v13, v17, v13, vcc_lo
	v_and_b32_e32 v17, 7, v11
	s_delay_alu instid0(VALU_DEP_2) | instskip(NEXT) | instid1(VALU_DEP_2)
	v_and_b32_e32 v3, 7, v13
	v_cmp_lt_i32_e32 vcc_lo, 5, v17
	v_cmp_eq_u32_e64 s1, 3, v17
	s_delay_alu instid0(VALU_DEP_3) | instskip(SKIP_2) | instid1(VALU_DEP_4)
	v_cmp_lt_i32_e64 s3, 5, v3
	v_cmp_eq_u32_e64 s4, 3, v3
	v_lshrrev_b32_e32 v3, 2, v11
	s_or_b32 vcc_lo, s1, vcc_lo
	v_cndmask_b32_e64 v11, 0, 1, s2
	s_delay_alu instid0(VALU_DEP_3) | instskip(NEXT) | instid1(VALU_DEP_2)
	s_or_b32 s1, s4, s3
	v_add_co_ci_u32_e32 v3, vcc_lo, 0, v3, vcc_lo
	v_cmp_gt_i32_e32 vcc_lo, 31, v6
	s_delay_alu instid0(VALU_DEP_3) | instskip(NEXT) | instid1(VALU_DEP_3)
	v_lshl_or_b32 v11, v11, 9, 0x7c00
	v_cndmask_b32_e32 v3, 0x7c00, v3, vcc_lo
	v_cmp_eq_u32_e32 vcc_lo, 0x40f, v6
	v_lshrrev_b32_e32 v6, 16, v16
	scratch_load_b32 v16, off, off offset:112 ; 4-byte Folded Reload
	v_cndmask_b32_e32 v3, v3, v11, vcc_lo
	v_lshrrev_b32_e32 v11, 2, v13
	v_cmp_ne_u32_e32 vcc_lo, 0, v18
	s_delay_alu instid0(VALU_DEP_3) | instskip(NEXT) | instid1(VALU_DEP_3)
	v_and_or_b32 v3, 0x8000, v6, v3
	v_add_co_ci_u32_e64 v11, s1, 0, v11, s1
	v_cmp_gt_i32_e64 s1, 31, v15
	v_cndmask_b32_e64 v13, 0, 1, vcc_lo
	v_cmp_eq_u32_e32 vcc_lo, 0x40f, v15
	v_and_b32_e32 v3, 0xffff, v3
	s_delay_alu instid0(VALU_DEP_4) | instskip(NEXT) | instid1(VALU_DEP_4)
	v_cndmask_b32_e64 v11, 0x7c00, v11, s1
	v_lshl_or_b32 v13, v13, 9, 0x7c00
	s_delay_alu instid0(VALU_DEP_1) | instskip(SKIP_1) | instid1(VALU_DEP_1)
	v_cndmask_b32_e32 v11, v11, v13, vcc_lo
	v_lshrrev_b32_e32 v13, 16, v19
	v_and_or_b32 v6, 0x8000, v13, v11
	scratch_load_b32 v11, off, off offset:116 ; 4-byte Folded Reload
	v_lshl_or_b32 v3, v6, 16, v3
	global_store_b32 v[7:8], v3, off
	v_cvt_f32_f16_e32 v3, v14
	v_add_co_u32 v7, vcc_lo, v7, s11
	v_add_co_ci_u32_e32 v8, vcc_lo, s10, v8, vcc_lo
	s_delay_alu instid0(VALU_DEP_3) | instskip(NEXT) | instid1(VALU_DEP_1)
	v_cvt_f64_f32_e32 v[13:14], v3
	v_mul_f64 v[13:14], v[13:14], s[6:7]
	s_delay_alu instid0(VALU_DEP_1) | instskip(SKIP_2) | instid1(VALU_DEP_3)
	v_and_or_b32 v3, 0x1ff, v14, v13
	v_lshrrev_b32_e32 v6, 8, v14
	v_bfe_u32 v15, v14, 20, 11
	v_cmp_ne_u32_e32 vcc_lo, 0, v3
	v_cndmask_b32_e64 v3, 0, 1, vcc_lo
	s_delay_alu instid0(VALU_DEP_1) | instskip(NEXT) | instid1(VALU_DEP_4)
	v_and_or_b32 v13, 0xffe, v6, v3
	v_sub_nc_u32_e32 v3, 0x3f1, v15
	s_delay_alu instid0(VALU_DEP_2) | instskip(NEXT) | instid1(VALU_DEP_2)
	v_or_b32_e32 v6, 0x1000, v13
	v_med3_i32 v3, v3, 0, 13
	s_delay_alu instid0(VALU_DEP_1) | instskip(NEXT) | instid1(VALU_DEP_1)
	v_lshrrev_b32_e32 v18, v3, v6
	v_lshlrev_b32_e32 v3, v3, v18
	s_delay_alu instid0(VALU_DEP_1) | instskip(SKIP_2) | instid1(VALU_DEP_1)
	v_cmp_ne_u32_e32 vcc_lo, v3, v6
	v_lshrrev_b32_e32 v3, 16, v5
	s_waitcnt vmcnt(0)
	v_mul_f16_e32 v6, v11, v3
	v_mul_f16_e32 v11, v11, v5
	s_delay_alu instid0(VALU_DEP_2) | instskip(NEXT) | instid1(VALU_DEP_2)
	v_fmac_f16_e32 v6, v16, v5
	v_fma_f16 v5, v16, v3, -v11
	v_cvt_f64_f32_e32 v[2:3], v2
	s_delay_alu instid0(VALU_DEP_1) | instskip(NEXT) | instid1(VALU_DEP_1)
	v_mul_f64 v[2:3], v[2:3], s[6:7]
	v_and_or_b32 v2, 0x1ff, v3, v2
	v_lshrrev_b32_e32 v11, 8, v3
	s_delay_alu instid0(VALU_DEP_2) | instskip(NEXT) | instid1(VALU_DEP_1)
	v_cmp_ne_u32_e64 s1, 0, v2
	v_cndmask_b32_e64 v2, 0, 1, s1
	s_delay_alu instid0(VALU_DEP_1) | instskip(SKIP_2) | instid1(VALU_DEP_3)
	v_and_or_b32 v2, 0xffe, v11, v2
	v_bfe_u32 v11, v3, 20, 11
	v_lshrrev_b32_e32 v3, 16, v3
	v_or_b32_e32 v17, 0x1000, v2
	s_delay_alu instid0(VALU_DEP_3) | instskip(SKIP_2) | instid1(VALU_DEP_3)
	v_sub_nc_u32_e32 v16, 0x3f1, v11
	v_add_nc_u32_e32 v11, 0xfffffc10, v11
	v_cmp_ne_u32_e64 s2, 0, v2
	v_med3_i32 v16, v16, 0, 13
	s_delay_alu instid0(VALU_DEP_1) | instskip(NEXT) | instid1(VALU_DEP_1)
	v_lshrrev_b32_e32 v19, v16, v17
	v_lshlrev_b32_e32 v16, v16, v19
	s_delay_alu instid0(VALU_DEP_1) | instskip(SKIP_1) | instid1(VALU_DEP_2)
	v_cmp_ne_u32_e64 s1, v16, v17
	v_lshl_or_b32 v17, v11, 12, v2
	v_cndmask_b32_e64 v16, 0, 1, s1
	v_cmp_gt_i32_e64 s1, 1, v11
	s_delay_alu instid0(VALU_DEP_2) | instskip(NEXT) | instid1(VALU_DEP_1)
	v_or_b32_e32 v16, v19, v16
	v_cndmask_b32_e64 v16, v17, v16, s1
	v_cndmask_b32_e64 v17, 0, 1, s0
	v_cmp_gt_i32_e64 s0, 1, v10
	s_delay_alu instid0(VALU_DEP_2) | instskip(SKIP_1) | instid1(VALU_DEP_1)
	v_or_b32_e32 v12, v12, v17
	v_lshl_or_b32 v17, v10, 12, v9
	v_cndmask_b32_e64 v12, v17, v12, s0
	v_and_b32_e32 v17, 7, v16
	s_delay_alu instid0(VALU_DEP_2) | instskip(NEXT) | instid1(VALU_DEP_2)
	v_and_b32_e32 v2, 7, v12
	v_cmp_lt_i32_e64 s0, 5, v17
	v_cmp_eq_u32_e64 s1, 3, v17
	s_delay_alu instid0(VALU_DEP_3) | instskip(SKIP_2) | instid1(VALU_DEP_4)
	v_cmp_lt_i32_e64 s3, 5, v2
	v_cmp_eq_u32_e64 s4, 3, v2
	v_lshrrev_b32_e32 v2, 2, v16
	s_or_b32 s0, s1, s0
	v_cndmask_b32_e64 v16, 0, 1, s2
	s_delay_alu instid0(VALU_DEP_3) | instskip(NEXT) | instid1(VALU_DEP_2)
	s_or_b32 s1, s4, s3
	v_add_co_ci_u32_e64 v2, s0, 0, v2, s0
	v_cmp_gt_i32_e64 s0, 31, v11
	s_delay_alu instid0(VALU_DEP_3) | instskip(NEXT) | instid1(VALU_DEP_2)
	v_lshl_or_b32 v16, v16, 9, 0x7c00
	v_cndmask_b32_e64 v2, 0x7c00, v2, s0
	v_cmp_eq_u32_e64 s0, 0x40f, v11
	s_delay_alu instid0(VALU_DEP_1) | instskip(SKIP_2) | instid1(VALU_DEP_3)
	v_cndmask_b32_e64 v2, v2, v16, s0
	v_cmp_ne_u32_e64 s0, 0, v9
	v_lshrrev_b32_e32 v9, 2, v12
	v_and_or_b32 v2, 0x8000, v3, v2
	s_delay_alu instid0(VALU_DEP_3) | instskip(NEXT) | instid1(VALU_DEP_3)
	v_cndmask_b32_e64 v11, 0, 1, s0
	v_add_co_ci_u32_e64 v9, s1, 0, v9, s1
	v_cmp_gt_i32_e64 s1, 31, v10
	v_cmp_eq_u32_e64 s0, 0x40f, v10
	s_delay_alu instid0(VALU_DEP_4) | instskip(SKIP_1) | instid1(VALU_DEP_4)
	v_lshl_or_b32 v11, v11, 9, 0x7c00
	v_and_b32_e32 v2, 0xffff, v2
	v_cndmask_b32_e64 v9, 0x7c00, v9, s1
	s_delay_alu instid0(VALU_DEP_1) | instskip(SKIP_1) | instid1(VALU_DEP_1)
	v_cndmask_b32_e64 v9, v9, v11, s0
	v_add_co_u32 v11, s0, v7, s11
	v_add_co_ci_u32_e64 v12, s0, s10, v8, s0
	s_delay_alu instid0(VALU_DEP_3) | instskip(NEXT) | instid1(VALU_DEP_1)
	v_and_or_b32 v1, 0x8000, v1, v9
	v_lshl_or_b32 v1, v1, 16, v2
	global_store_b32 v[7:8], v1, off
	v_cvt_f32_f16_e32 v1, v24
	s_delay_alu instid0(VALU_DEP_1) | instskip(NEXT) | instid1(VALU_DEP_1)
	v_cvt_f64_f32_e32 v[1:2], v1
	v_mul_f64 v[16:17], v[1:2], s[6:7]
	s_delay_alu instid0(VALU_DEP_1) | instskip(SKIP_3) | instid1(VALU_DEP_4)
	v_and_or_b32 v1, 0x1ff, v17, v16
	v_lshrrev_b32_e32 v2, 8, v17
	v_bfe_u32 v21, v17, 20, 11
	v_lshrrev_b32_e32 v17, 16, v17
	v_cmp_ne_u32_e64 s0, 0, v1
	s_delay_alu instid0(VALU_DEP_1) | instskip(NEXT) | instid1(VALU_DEP_1)
	v_cndmask_b32_e64 v1, 0, 1, s0
	v_and_or_b32 v20, 0xffe, v2, v1
	v_sub_nc_u32_e32 v1, 0x3f1, v21
	v_add_nc_u32_e32 v21, 0xfffffc10, v21
	s_delay_alu instid0(VALU_DEP_3) | instskip(NEXT) | instid1(VALU_DEP_3)
	v_or_b32_e32 v2, 0x1000, v20
	v_med3_i32 v1, v1, 0, 13
	s_delay_alu instid0(VALU_DEP_1) | instskip(NEXT) | instid1(VALU_DEP_1)
	v_lshrrev_b32_e32 v22, v1, v2
	v_lshlrev_b32_e32 v1, v1, v22
	s_delay_alu instid0(VALU_DEP_1) | instskip(SKIP_1) | instid1(VALU_DEP_1)
	v_cmp_ne_u32_e64 s1, v1, v2
	v_cvt_f32_f16_e32 v1, v5
	v_cvt_f64_f32_e32 v[1:2], v1
	s_delay_alu instid0(VALU_DEP_1) | instskip(NEXT) | instid1(VALU_DEP_1)
	v_mul_f64 v[2:3], v[1:2], s[6:7]
	v_and_or_b32 v1, 0x1ff, v3, v2
	v_lshrrev_b32_e32 v2, 8, v3
	v_bfe_u32 v9, v3, 20, 11
	v_lshrrev_b32_e32 v3, 16, v3
	s_delay_alu instid0(VALU_DEP_4) | instskip(NEXT) | instid1(VALU_DEP_1)
	v_cmp_ne_u32_e64 s0, 0, v1
	v_cndmask_b32_e64 v1, 0, 1, s0
	s_delay_alu instid0(VALU_DEP_1) | instskip(SKIP_2) | instid1(VALU_DEP_3)
	v_and_or_b32 v7, 0xffe, v2, v1
	v_sub_nc_u32_e32 v1, 0x3f1, v9
	v_add_nc_u32_e32 v9, 0xfffffc10, v9
	v_or_b32_e32 v2, 0x1000, v7
	s_delay_alu instid0(VALU_DEP_3) | instskip(NEXT) | instid1(VALU_DEP_1)
	v_med3_i32 v1, v1, 0, 13
	v_lshrrev_b32_e32 v10, v1, v2
	s_delay_alu instid0(VALU_DEP_1) | instskip(NEXT) | instid1(VALU_DEP_1)
	v_lshlrev_b32_e32 v1, v1, v10
	v_cmp_ne_u32_e64 s0, v1, v2
	v_cvt_f32_f16_e32 v1, v4
	s_delay_alu instid0(VALU_DEP_1) | instskip(NEXT) | instid1(VALU_DEP_1)
	v_cvt_f64_f32_e32 v[1:2], v1
	v_mul_f64 v[1:2], v[1:2], s[6:7]
	s_delay_alu instid0(VALU_DEP_1) | instskip(SKIP_1) | instid1(VALU_DEP_2)
	v_and_or_b32 v1, 0x1ff, v2, v1
	v_lshrrev_b32_e32 v4, 8, v2
	v_cmp_ne_u32_e64 s2, 0, v1
	s_delay_alu instid0(VALU_DEP_1) | instskip(NEXT) | instid1(VALU_DEP_1)
	v_cndmask_b32_e64 v1, 0, 1, s2
	v_and_or_b32 v1, 0xffe, v4, v1
	v_bfe_u32 v4, v2, 20, 11
	v_lshrrev_b32_e32 v2, 16, v2
	s_delay_alu instid0(VALU_DEP_3) | instskip(NEXT) | instid1(VALU_DEP_3)
	v_or_b32_e32 v8, 0x1000, v1
	v_sub_nc_u32_e32 v5, 0x3f1, v4
	v_add_nc_u32_e32 v4, 0xfffffc10, v4
	s_delay_alu instid0(VALU_DEP_2) | instskip(NEXT) | instid1(VALU_DEP_1)
	v_med3_i32 v5, v5, 0, 13
	v_lshrrev_b32_e32 v16, v5, v8
	s_delay_alu instid0(VALU_DEP_1) | instskip(NEXT) | instid1(VALU_DEP_1)
	v_lshlrev_b32_e32 v5, v5, v16
	v_cmp_ne_u32_e64 s2, v5, v8
	v_lshl_or_b32 v8, v4, 12, v1
	s_delay_alu instid0(VALU_DEP_2) | instskip(SKIP_1) | instid1(VALU_DEP_2)
	v_cndmask_b32_e64 v5, 0, 1, s2
	v_cmp_gt_i32_e64 s2, 1, v4
	v_or_b32_e32 v5, v16, v5
	s_delay_alu instid0(VALU_DEP_1) | instskip(NEXT) | instid1(VALU_DEP_1)
	v_cndmask_b32_e64 v5, v8, v5, s2
	v_and_b32_e32 v8, 7, v5
	v_lshrrev_b32_e32 v5, 2, v5
	s_delay_alu instid0(VALU_DEP_2) | instskip(SKIP_4) | instid1(VALU_DEP_4)
	v_cmp_lt_i32_e64 s2, 5, v8
	v_cmp_eq_u32_e64 s3, 3, v8
	v_cndmask_b32_e64 v8, 0, 1, vcc_lo
	v_cmp_ne_u32_e32 vcc_lo, 0, v1
	v_add_nc_u32_e32 v1, 0xfffffc10, v15
	s_or_b32 s2, s3, s2
	s_delay_alu instid0(VALU_DEP_3) | instskip(SKIP_1) | instid1(VALU_DEP_3)
	v_or_b32_e32 v8, v18, v8
	v_add_co_ci_u32_e64 v5, s2, 0, v5, s2
	v_lshl_or_b32 v15, v1, 12, v13
	v_cmp_gt_i32_e64 s4, 1, v1
	v_cmp_gt_i32_e64 s2, 31, v4
	v_cmp_ne_u32_e64 s3, 0, v13
	v_cvt_f64_f32_e32 v[18:19], v0
	s_delay_alu instid0(VALU_DEP_4) | instskip(SKIP_3) | instid1(VALU_DEP_3)
	v_cndmask_b32_e64 v8, v15, v8, s4
	v_cndmask_b32_e64 v15, 0, 1, vcc_lo
	v_cndmask_b32_e64 v5, 0x7c00, v5, s2
	v_cmp_eq_u32_e32 vcc_lo, 0x40f, v4
	v_lshl_or_b32 v15, v15, 9, 0x7c00
	s_delay_alu instid0(VALU_DEP_1) | instskip(NEXT) | instid1(VALU_DEP_1)
	v_dual_cndmask_b32 v4, v5, v15 :: v_dual_and_b32 v5, 7, v8
	v_and_or_b32 v2, 0x8000, v2, v4
	s_delay_alu instid0(VALU_DEP_2) | instskip(SKIP_4) | instid1(VALU_DEP_4)
	v_cmp_lt_i32_e32 vcc_lo, 5, v5
	v_cmp_eq_u32_e64 s2, 3, v5
	v_lshrrev_b32_e32 v5, 2, v8
	v_cndmask_b32_e64 v8, 0, 1, s3
	v_and_b32_e32 v2, 0xffff, v2
	s_or_b32 vcc_lo, s2, vcc_lo
	s_delay_alu instid0(VALU_DEP_3) | instskip(SKIP_2) | instid1(VALU_DEP_3)
	v_add_co_ci_u32_e32 v5, vcc_lo, 0, v5, vcc_lo
	v_cmp_gt_i32_e32 vcc_lo, 31, v1
	v_lshl_or_b32 v8, v8, 9, 0x7c00
	v_cndmask_b32_e32 v5, 0x7c00, v5, vcc_lo
	v_cmp_eq_u32_e32 vcc_lo, 0x40f, v1
	v_mul_f64 v[18:19], v[18:19], s[6:7]
	s_delay_alu instid0(VALU_DEP_3) | instskip(SKIP_3) | instid1(VALU_DEP_3)
	v_cndmask_b32_e32 v1, v5, v8, vcc_lo
	v_lshrrev_b32_e32 v5, 16, v14
	v_add_co_u32 v13, vcc_lo, v11, s11
	v_add_co_ci_u32_e32 v14, vcc_lo, s10, v12, vcc_lo
	v_and_or_b32 v1, 0x8000, v5, v1
	s_delay_alu instid0(VALU_DEP_1)
	v_lshl_or_b32 v1, v1, 16, v2
	global_store_b32 v[11:12], v1, off
	ds_load_2addr_b32 v[1:2], v124 offset0:8 offset1:204
	v_and_or_b32 v0, 0x1ff, v19, v18
	s_waitcnt lgkmcnt(0)
	v_lshrrev_b32_e32 v16, 16, v1
	v_mul_f16_e32 v4, v31, v1
	s_delay_alu instid0(VALU_DEP_3) | instskip(NEXT) | instid1(VALU_DEP_2)
	v_cmp_ne_u32_e64 s2, 0, v0
	v_fma_f16 v4, v26, v16, -v4
	s_delay_alu instid0(VALU_DEP_2) | instskip(NEXT) | instid1(VALU_DEP_2)
	v_cndmask_b32_e64 v0, 0, 1, s2
	v_cvt_f32_f16_e32 v4, v4
	s_delay_alu instid0(VALU_DEP_1) | instskip(NEXT) | instid1(VALU_DEP_1)
	v_cvt_f64_f32_e32 v[4:5], v4
	v_mul_f64 v[4:5], v[4:5], s[6:7]
	s_delay_alu instid0(VALU_DEP_1) | instskip(SKIP_3) | instid1(VALU_DEP_4)
	v_and_or_b32 v4, 0x1ff, v5, v4
	v_lshrrev_b32_e32 v8, 8, v5
	v_bfe_u32 v11, v5, 20, 11
	v_lshrrev_b32_e32 v5, 16, v5
	v_cmp_ne_u32_e32 vcc_lo, 0, v4
	v_cndmask_b32_e64 v4, 0, 1, vcc_lo
	s_delay_alu instid0(VALU_DEP_1) | instskip(SKIP_2) | instid1(VALU_DEP_3)
	v_and_or_b32 v8, 0xffe, v8, v4
	v_sub_nc_u32_e32 v4, 0x3f1, v11
	v_add_nc_u32_e32 v11, 0xfffffc10, v11
	v_or_b32_e32 v15, 0x1000, v8
	s_delay_alu instid0(VALU_DEP_3) | instskip(NEXT) | instid1(VALU_DEP_1)
	v_med3_i32 v4, v4, 0, 13
	v_lshrrev_b32_e32 v12, v4, v15
	s_delay_alu instid0(VALU_DEP_1) | instskip(NEXT) | instid1(VALU_DEP_1)
	v_lshlrev_b32_e32 v4, v4, v12
	v_cmp_ne_u32_e32 vcc_lo, v4, v15
	v_lshrrev_b32_e32 v4, 8, v19
	s_delay_alu instid0(VALU_DEP_1) | instskip(SKIP_1) | instid1(VALU_DEP_2)
	v_and_or_b32 v0, 0xffe, v4, v0
	v_bfe_u32 v4, v19, 20, 11
	v_or_b32_e32 v18, 0x1000, v0
	s_delay_alu instid0(VALU_DEP_2) | instskip(SKIP_2) | instid1(VALU_DEP_3)
	v_sub_nc_u32_e32 v15, 0x3f1, v4
	v_add_nc_u32_e32 v4, 0xfffffc10, v4
	v_cmp_ne_u32_e64 s3, 0, v0
	v_med3_i32 v15, v15, 0, 13
	s_delay_alu instid0(VALU_DEP_1) | instskip(NEXT) | instid1(VALU_DEP_1)
	v_lshrrev_b32_e32 v23, v15, v18
	v_lshlrev_b32_e32 v15, v15, v23
	s_delay_alu instid0(VALU_DEP_1) | instskip(SKIP_1) | instid1(VALU_DEP_2)
	v_cmp_ne_u32_e64 s2, v15, v18
	v_lshl_or_b32 v18, v4, 12, v0
	v_cndmask_b32_e64 v15, 0, 1, s2
	v_cmp_gt_i32_e64 s2, 1, v4
	s_delay_alu instid0(VALU_DEP_2) | instskip(NEXT) | instid1(VALU_DEP_1)
	v_or_b32_e32 v15, v23, v15
	v_cndmask_b32_e64 v15, v18, v15, s2
	v_cndmask_b32_e64 v18, 0, 1, s1
	v_cmp_gt_i32_e64 s1, 1, v21
	s_delay_alu instid0(VALU_DEP_2) | instskip(SKIP_1) | instid1(VALU_DEP_1)
	v_or_b32_e32 v18, v22, v18
	v_lshl_or_b32 v22, v21, 12, v20
	v_cndmask_b32_e64 v18, v22, v18, s1
	v_and_b32_e32 v22, 7, v15
	s_delay_alu instid0(VALU_DEP_2) | instskip(NEXT) | instid1(VALU_DEP_2)
	v_and_b32_e32 v0, 7, v18
	v_cmp_lt_i32_e64 s1, 5, v22
	v_cmp_eq_u32_e64 s2, 3, v22
	s_delay_alu instid0(VALU_DEP_3) | instskip(SKIP_2) | instid1(VALU_DEP_4)
	v_cmp_lt_i32_e64 s4, 5, v0
	v_cmp_eq_u32_e64 s5, 3, v0
	v_lshrrev_b32_e32 v0, 2, v15
	s_or_b32 s1, s2, s1
	v_cndmask_b32_e64 v15, 0, 1, s3
	s_delay_alu instid0(VALU_DEP_3) | instskip(NEXT) | instid1(VALU_DEP_2)
	s_or_b32 s2, s5, s4
	v_add_co_ci_u32_e64 v0, s1, 0, v0, s1
	v_cmp_gt_i32_e64 s1, 31, v4
	s_delay_alu instid0(VALU_DEP_3) | instskip(SKIP_1) | instid1(VALU_DEP_3)
	v_lshl_or_b32 v15, v15, 9, 0x7c00
	v_cmp_ne_u32_e64 s5, 0, v7
	v_cndmask_b32_e64 v0, 0x7c00, v0, s1
	v_cmp_eq_u32_e64 s1, 0x40f, v4
	v_lshrrev_b32_e32 v4, 16, v19
	s_delay_alu instid0(VALU_DEP_2) | instskip(SKIP_2) | instid1(VALU_DEP_3)
	v_cndmask_b32_e64 v0, v0, v15, s1
	v_lshrrev_b32_e32 v15, 2, v18
	v_cmp_ne_u32_e64 s1, 0, v20
	v_and_or_b32 v0, 0x8000, v4, v0
	s_delay_alu instid0(VALU_DEP_3) | instskip(SKIP_1) | instid1(VALU_DEP_4)
	v_add_co_ci_u32_e64 v15, s2, 0, v15, s2
	v_cmp_gt_i32_e64 s2, 31, v21
	v_cndmask_b32_e64 v18, 0, 1, s1
	v_cmp_eq_u32_e64 s1, 0x40f, v21
	v_and_b32_e32 v0, 0xffff, v0
	s_delay_alu instid0(VALU_DEP_4) | instskip(NEXT) | instid1(VALU_DEP_4)
	v_cndmask_b32_e64 v15, 0x7c00, v15, s2
	v_lshl_or_b32 v18, v18, 9, 0x7c00
	s_delay_alu instid0(VALU_DEP_1) | instskip(NEXT) | instid1(VALU_DEP_1)
	v_cndmask_b32_e64 v15, v15, v18, s1
	v_and_or_b32 v4, 0x8000, v17, v15
	s_delay_alu instid0(VALU_DEP_1) | instskip(SKIP_3) | instid1(VALU_DEP_1)
	v_lshl_or_b32 v0, v4, 16, v0
	global_store_b32 v[13:14], v0, off
	v_cvt_f32_f16_e32 v0, v6
	v_add_co_u32 v13, s1, v13, s11
	v_add_co_ci_u32_e64 v14, s1, s10, v14, s1
	s_delay_alu instid0(VALU_DEP_3) | instskip(NEXT) | instid1(VALU_DEP_1)
	v_cvt_f64_f32_e32 v[17:18], v0
	v_mul_f64 v[17:18], v[17:18], s[6:7]
	s_delay_alu instid0(VALU_DEP_1) | instskip(SKIP_1) | instid1(VALU_DEP_2)
	v_and_or_b32 v0, 0x1ff, v18, v17
	v_lshrrev_b32_e32 v4, 8, v18
	v_cmp_ne_u32_e64 s1, 0, v0
	s_delay_alu instid0(VALU_DEP_1) | instskip(NEXT) | instid1(VALU_DEP_1)
	v_cndmask_b32_e64 v0, 0, 1, s1
	v_and_or_b32 v0, 0xffe, v4, v0
	v_bfe_u32 v4, v18, 20, 11
	s_delay_alu instid0(VALU_DEP_2) | instskip(NEXT) | instid1(VALU_DEP_2)
	v_or_b32_e32 v15, 0x1000, v0
	v_sub_nc_u32_e32 v6, 0x3f1, v4
	v_add_nc_u32_e32 v4, 0xfffffc10, v4
	v_cmp_ne_u32_e64 s2, 0, v0
	s_delay_alu instid0(VALU_DEP_3) | instskip(NEXT) | instid1(VALU_DEP_1)
	v_med3_i32 v6, v6, 0, 13
	v_lshrrev_b32_e32 v17, v6, v15
	s_delay_alu instid0(VALU_DEP_1) | instskip(NEXT) | instid1(VALU_DEP_1)
	v_lshlrev_b32_e32 v6, v6, v17
	v_cmp_ne_u32_e64 s1, v6, v15
	v_lshl_or_b32 v15, v4, 12, v0
	s_delay_alu instid0(VALU_DEP_2) | instskip(SKIP_1) | instid1(VALU_DEP_2)
	v_cndmask_b32_e64 v6, 0, 1, s1
	v_cmp_gt_i32_e64 s1, 1, v4
	v_or_b32_e32 v6, v17, v6
	s_delay_alu instid0(VALU_DEP_1) | instskip(SKIP_2) | instid1(VALU_DEP_2)
	v_cndmask_b32_e64 v6, v15, v6, s1
	v_cndmask_b32_e64 v15, 0, 1, s0
	v_cmp_gt_i32_e64 s0, 1, v9
	v_or_b32_e32 v10, v10, v15
	v_lshl_or_b32 v15, v9, 12, v7
	v_cndmask_b32_e64 v7, 0, 1, s5
	s_delay_alu instid0(VALU_DEP_2) | instskip(SKIP_1) | instid1(VALU_DEP_3)
	v_cndmask_b32_e64 v10, v15, v10, s0
	v_and_b32_e32 v15, 7, v6
	v_lshl_or_b32 v7, v7, 9, 0x7c00
	s_delay_alu instid0(VALU_DEP_3) | instskip(NEXT) | instid1(VALU_DEP_3)
	v_and_b32_e32 v0, 7, v10
	v_cmp_lt_i32_e64 s0, 5, v15
	v_cmp_eq_u32_e64 s1, 3, v15
	s_delay_alu instid0(VALU_DEP_3) | instskip(SKIP_2) | instid1(VALU_DEP_4)
	v_cmp_lt_i32_e64 s3, 5, v0
	v_cmp_eq_u32_e64 s4, 3, v0
	v_lshrrev_b32_e32 v0, 2, v6
	s_or_b32 s0, s1, s0
	v_cndmask_b32_e64 v6, 0, 1, s2
	s_delay_alu instid0(VALU_DEP_2) | instskip(SKIP_1) | instid1(VALU_DEP_3)
	v_add_co_ci_u32_e64 v0, s0, 0, v0, s0
	v_cmp_gt_i32_e64 s0, 31, v4
	v_lshl_or_b32 v6, v6, 9, 0x7c00
	s_delay_alu instid0(VALU_DEP_2) | instskip(SKIP_2) | instid1(VALU_DEP_2)
	v_cndmask_b32_e64 v0, 0x7c00, v0, s0
	v_cmp_eq_u32_e64 s0, 0x40f, v4
	v_lshrrev_b32_e32 v4, 16, v18
	v_cndmask_b32_e64 v0, v0, v6, s0
	v_lshrrev_b32_e32 v6, 2, v10
	s_or_b32 s0, s4, s3
	s_delay_alu instid0(VALU_DEP_2) | instskip(NEXT) | instid1(VALU_DEP_2)
	v_and_or_b32 v0, 0x8000, v4, v0
	v_add_co_ci_u32_e64 v6, s0, 0, v6, s0
	v_cmp_gt_i32_e64 s0, 31, v9
	s_delay_alu instid0(VALU_DEP_3) | instskip(NEXT) | instid1(VALU_DEP_2)
	v_and_b32_e32 v0, 0xffff, v0
	v_cndmask_b32_e64 v6, 0x7c00, v6, s0
	v_cmp_eq_u32_e64 s0, 0x40f, v9
	s_delay_alu instid0(VALU_DEP_1) | instskip(SKIP_1) | instid1(VALU_DEP_1)
	v_cndmask_b32_e64 v6, v6, v7, s0
	v_add_co_u32 v17, s0, v13, s8
	v_add_co_ci_u32_e64 v18, s0, s9, v14, s0
	s_delay_alu instid0(VALU_DEP_3)
	v_and_or_b32 v3, 0x8000, v3, v6
	ds_load_2addr_b32 v[6:7], v128 offset0:24 offset1:220
	v_lshl_or_b32 v0, v3, 16, v0
	global_store_b32 v[13:14], v0, off
	s_waitcnt lgkmcnt(0)
	v_lshrrev_b32_e32 v23, 16, v6
	v_mul_f16_e32 v0, v28, v6
	s_delay_alu instid0(VALU_DEP_1) | instskip(NEXT) | instid1(VALU_DEP_1)
	v_fma_f16 v0, v27, v23, -v0
	v_cvt_f32_f16_e32 v0, v0
	s_delay_alu instid0(VALU_DEP_1) | instskip(NEXT) | instid1(VALU_DEP_1)
	v_cvt_f64_f32_e32 v[3:4], v0
	v_mul_f64 v[19:20], v[3:4], s[6:7]
	s_delay_alu instid0(VALU_DEP_1) | instskip(SKIP_2) | instid1(VALU_DEP_3)
	v_and_or_b32 v0, 0x1ff, v20, v19
	v_lshrrev_b32_e32 v3, 8, v20
	v_bfe_u32 v24, v20, 20, 11
	v_cmp_ne_u32_e64 s0, 0, v0
	s_delay_alu instid0(VALU_DEP_1) | instskip(NEXT) | instid1(VALU_DEP_1)
	v_cndmask_b32_e64 v0, 0, 1, s0
	v_and_or_b32 v19, 0xffe, v3, v0
	s_delay_alu instid0(VALU_DEP_4) | instskip(NEXT) | instid1(VALU_DEP_2)
	v_sub_nc_u32_e32 v0, 0x3f1, v24
	v_or_b32_e32 v3, 0x1000, v19
	s_delay_alu instid0(VALU_DEP_2) | instskip(NEXT) | instid1(VALU_DEP_1)
	v_med3_i32 v0, v0, 0, 13
	v_lshrrev_b32_e32 v25, v0, v3
	s_delay_alu instid0(VALU_DEP_1) | instskip(NEXT) | instid1(VALU_DEP_1)
	v_lshlrev_b32_e32 v0, v0, v25
	v_cmp_ne_u32_e64 s1, v0, v3
	ds_load_2addr_b32 v[3:4], v127 offset0:40 offset1:236
	s_waitcnt lgkmcnt(0)
	v_lshrrev_b32_e32 v0, 16, v3
	v_mul_f16_e32 v9, v30, v3
	s_delay_alu instid0(VALU_DEP_1) | instskip(SKIP_1) | instid1(VALU_DEP_2)
	v_fma_f16 v9, v29, v0, -v9
	v_mul_f16_e32 v0, v30, v0
	v_cvt_f32_f16_e32 v9, v9
	s_delay_alu instid0(VALU_DEP_2) | instskip(NEXT) | instid1(VALU_DEP_2)
	v_fmac_f16_e32 v0, v29, v3
	v_cvt_f64_f32_e32 v[9:10], v9
	s_delay_alu instid0(VALU_DEP_2) | instskip(NEXT) | instid1(VALU_DEP_2)
	v_cvt_f32_f16_e32 v0, v0
	v_mul_f64 v[9:10], v[9:10], s[6:7]
	s_delay_alu instid0(VALU_DEP_1) | instskip(SKIP_2) | instid1(VALU_DEP_3)
	v_and_or_b32 v9, 0x1ff, v10, v9
	v_lshrrev_b32_e32 v13, 8, v10
	v_bfe_u32 v14, v10, 20, 11
	v_cmp_ne_u32_e64 s0, 0, v9
	s_delay_alu instid0(VALU_DEP_1) | instskip(NEXT) | instid1(VALU_DEP_1)
	v_cndmask_b32_e64 v9, 0, 1, s0
	v_and_or_b32 v13, 0xffe, v13, v9
	s_delay_alu instid0(VALU_DEP_4) | instskip(SKIP_1) | instid1(VALU_DEP_3)
	v_sub_nc_u32_e32 v9, 0x3f1, v14
	v_add_nc_u32_e32 v14, 0xfffffc10, v14
	v_or_b32_e32 v21, 0x1000, v13
	s_delay_alu instid0(VALU_DEP_3) | instskip(SKIP_1) | instid1(VALU_DEP_2)
	v_med3_i32 v9, v9, 0, 13
	v_cmp_ne_u32_e64 s5, 0, v13
	v_lshrrev_b32_e32 v15, v9, v21
	s_delay_alu instid0(VALU_DEP_1) | instskip(NEXT) | instid1(VALU_DEP_1)
	v_lshlrev_b32_e32 v9, v9, v15
	v_cmp_ne_u32_e64 s0, v9, v21
	v_mul_f16_e32 v9, v31, v16
	s_delay_alu instid0(VALU_DEP_1) | instskip(NEXT) | instid1(VALU_DEP_1)
	v_fmac_f16_e32 v9, v26, v1
	v_cvt_f32_f16_e32 v1, v9
	s_delay_alu instid0(VALU_DEP_1) | instskip(NEXT) | instid1(VALU_DEP_1)
	v_cvt_f64_f32_e32 v[21:22], v1
	v_mul_f64 v[21:22], v[21:22], s[6:7]
	s_delay_alu instid0(VALU_DEP_1) | instskip(SKIP_1) | instid1(VALU_DEP_2)
	v_and_or_b32 v1, 0x1ff, v22, v21
	v_lshrrev_b32_e32 v9, 8, v22
	v_cmp_ne_u32_e64 s2, 0, v1
	s_delay_alu instid0(VALU_DEP_1) | instskip(NEXT) | instid1(VALU_DEP_1)
	v_cndmask_b32_e64 v1, 0, 1, s2
	v_and_or_b32 v1, 0xffe, v9, v1
	v_bfe_u32 v9, v22, 20, 11
	s_delay_alu instid0(VALU_DEP_2) | instskip(NEXT) | instid1(VALU_DEP_2)
	v_or_b32_e32 v21, 0x1000, v1
	v_sub_nc_u32_e32 v16, 0x3f1, v9
	v_add_nc_u32_e32 v9, 0xfffffc10, v9
	v_cmp_ne_u32_e64 s4, 0, v1
	s_delay_alu instid0(VALU_DEP_3) | instskip(NEXT) | instid1(VALU_DEP_1)
	v_med3_i32 v16, v16, 0, 13
	v_lshrrev_b32_e32 v26, v16, v21
	s_delay_alu instid0(VALU_DEP_1) | instskip(NEXT) | instid1(VALU_DEP_1)
	v_lshlrev_b32_e32 v16, v16, v26
	v_cmp_ne_u32_e64 s2, v16, v21
	v_lshl_or_b32 v21, v9, 12, v1
	v_cndmask_b32_e64 v1, 0, 1, vcc_lo
	v_cmp_gt_i32_e32 vcc_lo, 1, v11
	s_delay_alu instid0(VALU_DEP_4) | instskip(SKIP_1) | instid1(VALU_DEP_4)
	v_cndmask_b32_e64 v16, 0, 1, s2
	v_cmp_gt_i32_e64 s2, 1, v9
	v_or_b32_e32 v1, v12, v1
	v_lshl_or_b32 v12, v11, 12, v8
	s_delay_alu instid0(VALU_DEP_4) | instskip(NEXT) | instid1(VALU_DEP_2)
	v_or_b32_e32 v16, v26, v16
	v_cndmask_b32_e32 v1, v12, v1, vcc_lo
	s_delay_alu instid0(VALU_DEP_2) | instskip(NEXT) | instid1(VALU_DEP_1)
	v_cndmask_b32_e64 v16, v21, v16, s2
	v_and_b32_e32 v21, 7, v16
	v_lshrrev_b32_e32 v12, 2, v16
	v_cndmask_b32_e64 v16, 0, 1, s4
	s_delay_alu instid0(VALU_DEP_3) | instskip(SKIP_1) | instid1(VALU_DEP_3)
	v_cmp_lt_i32_e64 s2, 5, v21
	v_cmp_eq_u32_e64 s3, 3, v21
	v_lshl_or_b32 v16, v16, 9, 0x7c00
	s_delay_alu instid0(VALU_DEP_2) | instskip(SKIP_3) | instid1(VALU_DEP_3)
	s_or_b32 vcc_lo, s3, s2
	v_cmp_ne_u32_e64 s3, 0, v8
	v_add_co_ci_u32_e32 v12, vcc_lo, 0, v12, vcc_lo
	v_cmp_gt_i32_e32 vcc_lo, 31, v9
	v_cndmask_b32_e64 v8, 0, 1, s3
	s_delay_alu instid0(VALU_DEP_3) | instskip(SKIP_1) | instid1(VALU_DEP_3)
	v_cndmask_b32_e32 v12, 0x7c00, v12, vcc_lo
	v_cmp_eq_u32_e32 vcc_lo, 0x40f, v9
	v_lshl_or_b32 v8, v8, 9, 0x7c00
	s_delay_alu instid0(VALU_DEP_3) | instskip(SKIP_2) | instid1(VALU_DEP_3)
	v_dual_cndmask_b32 v9, v12, v16 :: v_dual_and_b32 v16, 7, v1
	v_lshrrev_b32_e32 v1, 2, v1
	v_lshrrev_b32_e32 v12, 16, v22
	v_cmp_lt_i32_e32 vcc_lo, 5, v16
	v_cmp_eq_u32_e64 s2, 3, v16
	s_delay_alu instid0(VALU_DEP_1) | instskip(SKIP_2) | instid1(VALU_DEP_2)
	s_or_b32 vcc_lo, s2, vcc_lo
	v_add_co_ci_u32_e32 v1, vcc_lo, 0, v1, vcc_lo
	v_cmp_gt_i32_e32 vcc_lo, 31, v11
	v_cndmask_b32_e32 v1, 0x7c00, v1, vcc_lo
	v_cmp_eq_u32_e32 vcc_lo, 0x40f, v11
	s_delay_alu instid0(VALU_DEP_2) | instskip(SKIP_1) | instid1(VALU_DEP_2)
	v_cndmask_b32_e32 v1, v1, v8, vcc_lo
	v_and_or_b32 v8, 0x8000, v12, v9
	v_and_or_b32 v1, 0x8000, v5, v1
	s_delay_alu instid0(VALU_DEP_2) | instskip(SKIP_2) | instid1(VALU_DEP_3)
	v_and_b32_e32 v5, 0xffff, v8
	v_add_co_u32 v8, vcc_lo, v17, s11
	v_add_co_ci_u32_e32 v9, vcc_lo, s10, v18, vcc_lo
	v_lshl_or_b32 v1, v1, 16, v5
	global_store_b32 v[17:18], v1, off
	v_mul_f16_e32 v1, v28, v23
	s_delay_alu instid0(VALU_DEP_1) | instskip(NEXT) | instid1(VALU_DEP_1)
	v_fmac_f16_e32 v1, v27, v6
	v_cvt_f32_f16_e32 v1, v1
	s_delay_alu instid0(VALU_DEP_1) | instskip(NEXT) | instid1(VALU_DEP_1)
	v_cvt_f64_f32_e32 v[5:6], v1
	v_mul_f64 v[5:6], v[5:6], s[6:7]
	s_delay_alu instid0(VALU_DEP_1) | instskip(SKIP_1) | instid1(VALU_DEP_2)
	v_and_or_b32 v1, 0x1ff, v6, v5
	v_lshrrev_b32_e32 v5, 8, v6
	v_cmp_ne_u32_e32 vcc_lo, 0, v1
	v_cndmask_b32_e64 v1, 0, 1, vcc_lo
	s_delay_alu instid0(VALU_DEP_1) | instskip(SKIP_2) | instid1(VALU_DEP_3)
	v_and_or_b32 v1, 0xffe, v5, v1
	v_bfe_u32 v5, v6, 20, 11
	v_lshrrev_b32_e32 v6, 16, v6
	v_or_b32_e32 v12, 0x1000, v1
	s_delay_alu instid0(VALU_DEP_3) | instskip(SKIP_1) | instid1(VALU_DEP_2)
	v_sub_nc_u32_e32 v11, 0x3f1, v5
	v_add_nc_u32_e32 v5, 0xfffffc10, v5
	v_med3_i32 v11, v11, 0, 13
	s_delay_alu instid0(VALU_DEP_1) | instskip(NEXT) | instid1(VALU_DEP_1)
	v_lshrrev_b32_e32 v16, v11, v12
	v_lshlrev_b32_e32 v11, v11, v16
	s_delay_alu instid0(VALU_DEP_1) | instskip(SKIP_3) | instid1(VALU_DEP_2)
	v_cmp_ne_u32_e32 vcc_lo, v11, v12
	v_lshl_or_b32 v12, v5, 12, v1
	v_cndmask_b32_e64 v11, 0, 1, vcc_lo
	v_cmp_gt_i32_e32 vcc_lo, 1, v5
	v_or_b32_e32 v11, v16, v11
	s_delay_alu instid0(VALU_DEP_1) | instskip(NEXT) | instid1(VALU_DEP_1)
	v_cndmask_b32_e32 v11, v12, v11, vcc_lo
	v_and_b32_e32 v12, 7, v11
	v_lshrrev_b32_e32 v11, 2, v11
	s_delay_alu instid0(VALU_DEP_2) | instskip(SKIP_4) | instid1(VALU_DEP_4)
	v_cmp_lt_i32_e32 vcc_lo, 5, v12
	v_cmp_eq_u32_e64 s2, 3, v12
	v_cndmask_b32_e64 v12, 0, 1, s1
	v_cmp_ne_u32_e64 s1, 0, v1
	v_add_nc_u32_e32 v1, 0xfffffc10, v24
	s_or_b32 vcc_lo, s2, vcc_lo
	s_delay_alu instid0(VALU_DEP_3) | instskip(SKIP_1) | instid1(VALU_DEP_3)
	v_or_b32_e32 v12, v25, v12
	v_add_co_ci_u32_e32 v11, vcc_lo, 0, v11, vcc_lo
	v_lshl_or_b32 v16, v1, 12, v19
	v_cmp_gt_i32_e64 s3, 1, v1
	v_cmp_gt_i32_e32 vcc_lo, 31, v5
	v_cmp_ne_u32_e64 s2, 0, v19
	s_delay_alu instid0(VALU_DEP_3) | instskip(SKIP_3) | instid1(VALU_DEP_3)
	v_cndmask_b32_e64 v12, v16, v12, s3
	v_cndmask_b32_e64 v16, 0, 1, s1
	v_cndmask_b32_e32 v11, 0x7c00, v11, vcc_lo
	v_cmp_eq_u32_e32 vcc_lo, 0x40f, v5
	v_lshl_or_b32 v16, v16, 9, 0x7c00
	s_delay_alu instid0(VALU_DEP_1) | instskip(SKIP_1) | instid1(VALU_DEP_2)
	v_cndmask_b32_e32 v5, v11, v16, vcc_lo
	v_and_b32_e32 v11, 7, v12
	v_and_or_b32 v5, 0x8000, v6, v5
	s_delay_alu instid0(VALU_DEP_2) | instskip(SKIP_4) | instid1(VALU_DEP_4)
	v_cmp_lt_i32_e32 vcc_lo, 5, v11
	v_cmp_eq_u32_e64 s1, 3, v11
	v_lshrrev_b32_e32 v11, 2, v12
	v_cndmask_b32_e64 v12, 0, 1, s2
	v_and_b32_e32 v5, 0xffff, v5
	s_or_b32 vcc_lo, s1, vcc_lo
	s_delay_alu instid0(VALU_DEP_3) | instskip(SKIP_2) | instid1(VALU_DEP_3)
	v_add_co_ci_u32_e32 v11, vcc_lo, 0, v11, vcc_lo
	v_cmp_gt_i32_e32 vcc_lo, 31, v1
	v_lshl_or_b32 v12, v12, 9, 0x7c00
	v_cndmask_b32_e32 v11, 0x7c00, v11, vcc_lo
	v_cmp_eq_u32_e32 vcc_lo, 0x40f, v1
	s_delay_alu instid0(VALU_DEP_2) | instskip(SKIP_1) | instid1(VALU_DEP_1)
	v_cndmask_b32_e32 v1, v11, v12, vcc_lo
	v_lshrrev_b32_e32 v11, 16, v20
	v_and_or_b32 v1, 0x8000, v11, v1
	v_add_co_u32 v11, vcc_lo, v8, s11
	v_add_co_ci_u32_e32 v12, vcc_lo, s10, v9, vcc_lo
	s_delay_alu instid0(VALU_DEP_3)
	v_lshl_or_b32 v1, v1, 16, v5
	global_store_b32 v[8:9], v1, off
	ds_load_2addr_b32 v[8:9], v194 offset0:56 offset1:252
	s_waitcnt lgkmcnt(0)
	v_lshrrev_b32_e32 v24, 16, v8
	v_mul_f16_e32 v1, v36, v8
	s_delay_alu instid0(VALU_DEP_1) | instskip(NEXT) | instid1(VALU_DEP_1)
	v_fma_f16 v1, v35, v24, -v1
	v_cvt_f32_f16_e32 v1, v1
	s_delay_alu instid0(VALU_DEP_1) | instskip(NEXT) | instid1(VALU_DEP_1)
	v_cvt_f64_f32_e32 v[5:6], v1
	v_mul_f64 v[18:19], v[5:6], s[6:7]
	s_delay_alu instid0(VALU_DEP_1) | instskip(SKIP_3) | instid1(VALU_DEP_4)
	v_and_or_b32 v1, 0x1ff, v19, v18
	v_lshrrev_b32_e32 v5, 8, v19
	v_bfe_u32 v27, v19, 20, 11
	v_lshrrev_b32_e32 v19, 16, v19
	v_cmp_ne_u32_e32 vcc_lo, 0, v1
	v_cndmask_b32_e64 v1, 0, 1, vcc_lo
	s_delay_alu instid0(VALU_DEP_1) | instskip(SKIP_1) | instid1(VALU_DEP_2)
	v_and_or_b32 v26, 0xffe, v5, v1
	v_sub_nc_u32_e32 v1, 0x3f1, v27
	v_or_b32_e32 v5, 0x1000, v26
	s_delay_alu instid0(VALU_DEP_2) | instskip(NEXT) | instid1(VALU_DEP_1)
	v_med3_i32 v1, v1, 0, 13
	v_lshrrev_b32_e32 v28, v1, v5
	s_delay_alu instid0(VALU_DEP_1) | instskip(NEXT) | instid1(VALU_DEP_1)
	v_lshlrev_b32_e32 v1, v1, v28
	v_cmp_ne_u32_e64 s1, v1, v5
	v_cvt_f64_f32_e32 v[0:1], v0
	s_delay_alu instid0(VALU_DEP_1) | instskip(NEXT) | instid1(VALU_DEP_1)
	v_mul_f64 v[0:1], v[0:1], s[6:7]
	v_and_or_b32 v0, 0x1ff, v1, v0
	v_lshrrev_b32_e32 v3, 8, v1
	s_delay_alu instid0(VALU_DEP_2) | instskip(SKIP_1) | instid1(VALU_DEP_1)
	v_cmp_ne_u32_e32 vcc_lo, 0, v0
	v_cndmask_b32_e64 v0, 0, 1, vcc_lo
	v_and_or_b32 v0, 0xffe, v3, v0
	v_bfe_u32 v3, v1, 20, 11
	v_lshrrev_b32_e32 v1, 16, v1
	s_delay_alu instid0(VALU_DEP_3) | instskip(NEXT) | instid1(VALU_DEP_3)
	v_or_b32_e32 v6, 0x1000, v0
	v_sub_nc_u32_e32 v5, 0x3f1, v3
	v_add_nc_u32_e32 v3, 0xfffffc10, v3
	v_cmp_ne_u32_e64 s2, 0, v0
	s_delay_alu instid0(VALU_DEP_3) | instskip(NEXT) | instid1(VALU_DEP_1)
	v_med3_i32 v5, v5, 0, 13
	v_lshrrev_b32_e32 v16, v5, v6
	s_delay_alu instid0(VALU_DEP_1) | instskip(NEXT) | instid1(VALU_DEP_1)
	v_lshlrev_b32_e32 v5, v5, v16
	v_cmp_ne_u32_e32 vcc_lo, v5, v6
	v_lshl_or_b32 v6, v3, 12, v0
	v_cndmask_b32_e64 v5, 0, 1, vcc_lo
	v_cmp_gt_i32_e32 vcc_lo, 1, v3
	s_delay_alu instid0(VALU_DEP_2) | instskip(NEXT) | instid1(VALU_DEP_1)
	v_or_b32_e32 v5, v16, v5
	v_cndmask_b32_e32 v5, v6, v5, vcc_lo
	v_cndmask_b32_e64 v6, 0, 1, s0
	v_cmp_gt_i32_e32 vcc_lo, 1, v14
	s_delay_alu instid0(VALU_DEP_2) | instskip(SKIP_3) | instid1(VALU_DEP_1)
	v_or_b32_e32 v6, v15, v6
	v_lshl_or_b32 v15, v14, 12, v13
	scratch_load_b32 v13, off, off offset:52 ; 4-byte Folded Reload
	v_dual_cndmask_b32 v6, v15, v6 :: v_dual_and_b32 v15, 7, v5
	v_and_b32_e32 v0, 7, v6
	s_delay_alu instid0(VALU_DEP_2) | instskip(SKIP_1) | instid1(VALU_DEP_3)
	v_cmp_lt_i32_e32 vcc_lo, 5, v15
	v_cmp_eq_u32_e64 s0, 3, v15
	v_cmp_lt_i32_e64 s3, 5, v0
	v_cmp_eq_u32_e64 s4, 3, v0
	v_lshrrev_b32_e32 v0, 2, v5
	s_delay_alu instid0(VALU_DEP_4) | instskip(SKIP_1) | instid1(VALU_DEP_2)
	s_or_b32 vcc_lo, s0, vcc_lo
	v_cndmask_b32_e64 v5, 0, 1, s2
	v_add_co_ci_u32_e32 v0, vcc_lo, 0, v0, vcc_lo
	v_cmp_gt_i32_e32 vcc_lo, 31, v3
	s_delay_alu instid0(VALU_DEP_3) | instskip(NEXT) | instid1(VALU_DEP_3)
	v_lshl_or_b32 v5, v5, 9, 0x7c00
	v_cndmask_b32_e32 v0, 0x7c00, v0, vcc_lo
	v_cmp_eq_u32_e32 vcc_lo, 0x40f, v3
	v_lshrrev_b32_e32 v3, 2, v6
	s_delay_alu instid0(VALU_DEP_3) | instskip(SKIP_2) | instid1(VALU_DEP_3)
	v_cndmask_b32_e32 v0, v0, v5, vcc_lo
	s_or_b32 vcc_lo, s4, s3
	v_cndmask_b32_e64 v5, 0, 1, s5
	v_add_co_ci_u32_e32 v3, vcc_lo, 0, v3, vcc_lo
	v_cmp_gt_i32_e32 vcc_lo, 31, v14
	v_and_or_b32 v0, 0x8000, v1, v0
	s_delay_alu instid0(VALU_DEP_4) | instskip(NEXT) | instid1(VALU_DEP_4)
	v_lshl_or_b32 v5, v5, 9, 0x7c00
	v_cndmask_b32_e32 v3, 0x7c00, v3, vcc_lo
	v_cmp_eq_u32_e32 vcc_lo, 0x40f, v14
	s_delay_alu instid0(VALU_DEP_2) | instskip(SKIP_3) | instid1(VALU_DEP_3)
	v_dual_cndmask_b32 v3, v3, v5 :: v_dual_and_b32 v0, 0xffff, v0
	v_lshrrev_b32_e32 v5, 16, v10
	v_add_co_u32 v20, vcc_lo, v11, s11
	v_add_co_ci_u32_e32 v21, vcc_lo, s10, v12, vcc_lo
	v_and_or_b32 v1, 0x8000, v5, v3
	ds_load_2addr_b32 v[5:6], v135 offset0:8 offset1:204
	v_lshl_or_b32 v0, v1, 16, v0
	global_store_b32 v[11:12], v0, off
	scratch_load_b32 v12, off, off offset:56 ; 4-byte Folded Reload
	s_waitcnt lgkmcnt(0)
	v_lshrrev_b32_e32 v29, 16, v5
	v_mul_f16_e32 v0, v40, v5
	s_delay_alu instid0(VALU_DEP_1) | instskip(NEXT) | instid1(VALU_DEP_1)
	v_fma_f16 v0, v39, v29, -v0
	v_cvt_f32_f16_e32 v0, v0
	s_delay_alu instid0(VALU_DEP_1) | instskip(NEXT) | instid1(VALU_DEP_1)
	v_cvt_f64_f32_e32 v[0:1], v0
	v_mul_f64 v[22:23], v[0:1], s[6:7]
	s_delay_alu instid0(VALU_DEP_1)
	v_and_or_b32 v0, 0x1ff, v23, v22
	v_lshrrev_b32_e32 v1, 8, v23
	v_bfe_u32 v31, v23, 20, 11
	scratch_load_b32 v22, off, off offset:48 ; 4-byte Folded Reload
	v_cmp_ne_u32_e32 vcc_lo, 0, v0
	v_cndmask_b32_e64 v0, 0, 1, vcc_lo
	s_delay_alu instid0(VALU_DEP_1) | instskip(SKIP_1) | instid1(VALU_DEP_2)
	v_and_or_b32 v30, 0xffe, v1, v0
	v_sub_nc_u32_e32 v0, 0x3f1, v31
	v_or_b32_e32 v1, 0x1000, v30
	s_delay_alu instid0(VALU_DEP_2) | instskip(NEXT) | instid1(VALU_DEP_1)
	v_med3_i32 v0, v0, 0, 13
	v_lshrrev_b32_e32 v32, v0, v1
	s_delay_alu instid0(VALU_DEP_1) | instskip(NEXT) | instid1(VALU_DEP_1)
	v_lshlrev_b32_e32 v0, v0, v32
	v_cmp_ne_u32_e64 s2, v0, v1
	ds_load_2addr_b32 v[0:1], v134 offset0:24 offset1:220
	s_waitcnt lgkmcnt(0)
	v_lshrrev_b32_e32 v15, 16, v0
	v_mul_f16_e32 v3, v38, v0
	s_delay_alu instid0(VALU_DEP_1) | instskip(NEXT) | instid1(VALU_DEP_1)
	v_fma_f16 v3, v37, v15, -v3
	v_cvt_f32_f16_e32 v3, v3
	s_delay_alu instid0(VALU_DEP_1) | instskip(NEXT) | instid1(VALU_DEP_1)
	v_cvt_f64_f32_e32 v[10:11], v3
	v_mul_f64 v[10:11], v[10:11], s[6:7]
	s_delay_alu instid0(VALU_DEP_1) | instskip(SKIP_2) | instid1(VALU_DEP_3)
	v_and_or_b32 v3, 0x1ff, v11, v10
	v_lshrrev_b32_e32 v10, 8, v11
	v_bfe_u32 v17, v11, 20, 11
	v_cmp_ne_u32_e32 vcc_lo, 0, v3
	v_cndmask_b32_e64 v3, 0, 1, vcc_lo
	s_delay_alu instid0(VALU_DEP_1) | instskip(NEXT) | instid1(VALU_DEP_4)
	v_and_or_b32 v16, 0xffe, v10, v3
	v_sub_nc_u32_e32 v3, 0x3f1, v17
	s_delay_alu instid0(VALU_DEP_2) | instskip(NEXT) | instid1(VALU_DEP_2)
	v_or_b32_e32 v10, 0x1000, v16
	v_med3_i32 v3, v3, 0, 13
	s_delay_alu instid0(VALU_DEP_1) | instskip(NEXT) | instid1(VALU_DEP_1)
	v_lshrrev_b32_e32 v18, v3, v10
	v_lshlrev_b32_e32 v3, v3, v18
	s_delay_alu instid0(VALU_DEP_1) | instskip(SKIP_3) | instid1(VALU_DEP_1)
	v_cmp_ne_u32_e64 s0, v3, v10
	scratch_load_b32 v10, off, off offset:60 ; 4-byte Folded Reload
	v_lshrrev_b32_e32 v3, 16, v2
	s_waitcnt vmcnt(0)
	v_mul_f16_e32 v33, v10, v3
	v_mul_f16_e32 v10, v10, v2
	s_delay_alu instid0(VALU_DEP_2) | instskip(NEXT) | instid1(VALU_DEP_2)
	v_fmac_f16_e32 v33, v12, v2
	v_fma_f16 v14, v12, v3, -v10
	ds_load_2addr_b32 v[2:3], v193 offset0:40 offset1:236
	s_waitcnt lgkmcnt(0)
	v_lshrrev_b32_e32 v10, 16, v2
	v_mul_f16_e32 v12, v13, v2
	s_delay_alu instid0(VALU_DEP_2) | instskip(NEXT) | instid1(VALU_DEP_2)
	v_mul_f16_e32 v13, v13, v10
	v_fma_f16 v34, v22, v10, -v12
	s_delay_alu instid0(VALU_DEP_2) | instskip(NEXT) | instid1(VALU_DEP_1)
	v_fmac_f16_e32 v13, v22, v2
	v_cvt_f32_f16_e32 v2, v13
	s_delay_alu instid0(VALU_DEP_1) | instskip(NEXT) | instid1(VALU_DEP_1)
	v_cvt_f64_f32_e32 v[12:13], v2
	v_mul_f64 v[12:13], v[12:13], s[6:7]
	s_delay_alu instid0(VALU_DEP_1) | instskip(SKIP_1) | instid1(VALU_DEP_2)
	v_and_or_b32 v2, 0x1ff, v13, v12
	v_lshrrev_b32_e32 v10, 8, v13
	v_cmp_ne_u32_e32 vcc_lo, 0, v2
	v_cndmask_b32_e64 v2, 0, 1, vcc_lo
	s_delay_alu instid0(VALU_DEP_1) | instskip(SKIP_2) | instid1(VALU_DEP_3)
	v_and_or_b32 v2, 0xffe, v10, v2
	v_bfe_u32 v10, v13, 20, 11
	v_lshrrev_b32_e32 v13, 16, v13
	v_or_b32_e32 v25, 0x1000, v2
	s_delay_alu instid0(VALU_DEP_3) | instskip(NEXT) | instid1(VALU_DEP_1)
	v_sub_nc_u32_e32 v12, 0x3f1, v10
	v_med3_i32 v22, v12, 0, 13
	s_delay_alu instid0(VALU_DEP_1) | instskip(NEXT) | instid1(VALU_DEP_1)
	v_lshrrev_b32_e32 v12, v22, v25
	v_lshlrev_b32_e32 v22, v22, v12
	s_delay_alu instid0(VALU_DEP_1) | instskip(SKIP_1) | instid1(VALU_DEP_1)
	v_cmp_ne_u32_e32 vcc_lo, v22, v25
	v_mul_f16_e32 v22, v36, v24
	v_fmac_f16_e32 v22, v35, v8
	s_delay_alu instid0(VALU_DEP_1) | instskip(NEXT) | instid1(VALU_DEP_1)
	v_cvt_f32_f16_e32 v8, v22
	v_cvt_f64_f32_e32 v[24:25], v8
	s_delay_alu instid0(VALU_DEP_1) | instskip(NEXT) | instid1(VALU_DEP_1)
	v_mul_f64 v[24:25], v[24:25], s[6:7]
	v_and_or_b32 v8, 0x1ff, v25, v24
	v_lshrrev_b32_e32 v22, 8, v25
	s_delay_alu instid0(VALU_DEP_2) | instskip(NEXT) | instid1(VALU_DEP_1)
	v_cmp_ne_u32_e64 s3, 0, v8
	v_cndmask_b32_e64 v8, 0, 1, s3
	s_delay_alu instid0(VALU_DEP_1) | instskip(SKIP_1) | instid1(VALU_DEP_2)
	v_and_or_b32 v8, 0xffe, v22, v8
	v_bfe_u32 v22, v25, 20, 11
	v_or_b32_e32 v35, 0x1000, v8
	s_delay_alu instid0(VALU_DEP_2) | instskip(SKIP_1) | instid1(VALU_DEP_2)
	v_sub_nc_u32_e32 v24, 0x3f1, v22
	v_add_nc_u32_e32 v22, 0xfffffc10, v22
	v_med3_i32 v24, v24, 0, 13
	s_delay_alu instid0(VALU_DEP_1) | instskip(NEXT) | instid1(VALU_DEP_1)
	v_lshrrev_b32_e32 v36, v24, v35
	v_lshlrev_b32_e32 v24, v24, v36
	s_delay_alu instid0(VALU_DEP_1) | instskip(SKIP_1) | instid1(VALU_DEP_2)
	v_cmp_ne_u32_e64 s3, v24, v35
	v_lshl_or_b32 v35, v22, 12, v8
	v_cndmask_b32_e64 v24, 0, 1, s3
	v_cmp_gt_i32_e64 s3, 1, v22
	s_delay_alu instid0(VALU_DEP_2) | instskip(NEXT) | instid1(VALU_DEP_1)
	v_or_b32_e32 v24, v36, v24
	v_cndmask_b32_e64 v24, v35, v24, s3
	s_delay_alu instid0(VALU_DEP_1) | instskip(SKIP_1) | instid1(VALU_DEP_2)
	v_and_b32_e32 v35, 7, v24
	v_lshrrev_b32_e32 v24, 2, v24
	v_cmp_lt_i32_e64 s3, 5, v35
	v_cmp_eq_u32_e64 s4, 3, v35
	v_cndmask_b32_e64 v35, 0, 1, s1
	v_cmp_ne_u32_e64 s1, 0, v8
	v_add_nc_u32_e32 v8, 0xfffffc10, v27
	s_delay_alu instid0(VALU_DEP_4) | instskip(NEXT) | instid1(VALU_DEP_3)
	s_or_b32 s3, s4, s3
	v_or_b32_e32 v28, v28, v35
	v_add_co_ci_u32_e64 v24, s3, 0, v24, s3
	s_delay_alu instid0(VALU_DEP_3) | instskip(SKIP_3) | instid1(VALU_DEP_3)
	v_lshl_or_b32 v27, v8, 12, v26
	v_cmp_gt_i32_e64 s5, 1, v8
	v_cmp_gt_i32_e64 s3, 31, v22
	v_cmp_ne_u32_e64 s4, 0, v26
	v_cndmask_b32_e64 v27, v27, v28, s5
	v_cndmask_b32_e64 v28, 0, 1, s1
	s_delay_alu instid0(VALU_DEP_4) | instskip(SKIP_2) | instid1(VALU_DEP_4)
	v_cndmask_b32_e64 v24, 0x7c00, v24, s3
	v_cmp_eq_u32_e64 s1, 0x40f, v22
	v_cndmask_b32_e64 v26, 0, 1, s4
	v_lshl_or_b32 v28, v28, 9, 0x7c00
	s_delay_alu instid0(VALU_DEP_2) | instskip(NEXT) | instid1(VALU_DEP_2)
	v_lshl_or_b32 v26, v26, 9, 0x7c00
	v_cndmask_b32_e64 v22, v24, v28, s1
	v_lshrrev_b32_e32 v24, 16, v25
	v_and_b32_e32 v25, 7, v27
	s_delay_alu instid0(VALU_DEP_2) | instskip(NEXT) | instid1(VALU_DEP_2)
	v_and_or_b32 v22, 0x8000, v24, v22
	v_cmp_lt_i32_e64 s1, 5, v25
	v_cmp_eq_u32_e64 s3, 3, v25
	v_lshrrev_b32_e32 v25, 2, v27
	s_delay_alu instid0(VALU_DEP_2)
	s_or_b32 s1, s3, s1
	s_delay_alu instid0(VALU_DEP_1) | instid1(SALU_CYCLE_1)
	v_add_co_ci_u32_e64 v25, s1, 0, v25, s1
	v_cmp_gt_i32_e64 s1, 31, v8
	s_delay_alu instid0(VALU_DEP_1) | instskip(SKIP_1) | instid1(VALU_DEP_1)
	v_cndmask_b32_e64 v25, 0x7c00, v25, s1
	v_cmp_eq_u32_e64 s1, 0x40f, v8
	v_cndmask_b32_e64 v8, v25, v26, s1
	s_delay_alu instid0(VALU_DEP_1) | instskip(SKIP_1) | instid1(VALU_DEP_1)
	v_and_or_b32 v8, 0x8000, v19, v8
	v_and_b32_e32 v19, 0xffff, v22
	v_lshl_or_b32 v8, v8, 16, v19
	v_add_co_u32 v19, s1, v20, s11
	global_store_b32 v[20:21], v8, off
	v_mul_f16_e32 v8, v40, v29
	v_add_co_ci_u32_e64 v20, s1, s10, v21, s1
	s_delay_alu instid0(VALU_DEP_2) | instskip(NEXT) | instid1(VALU_DEP_1)
	v_fmac_f16_e32 v8, v39, v5
	v_cvt_f32_f16_e32 v5, v8
	s_delay_alu instid0(VALU_DEP_1) | instskip(NEXT) | instid1(VALU_DEP_1)
	v_cvt_f64_f32_e32 v[21:22], v5
	v_mul_f64 v[21:22], v[21:22], s[6:7]
	s_delay_alu instid0(VALU_DEP_1) | instskip(SKIP_1) | instid1(VALU_DEP_2)
	v_and_or_b32 v5, 0x1ff, v22, v21
	v_lshrrev_b32_e32 v8, 8, v22
	v_cmp_ne_u32_e64 s1, 0, v5
	s_delay_alu instid0(VALU_DEP_1) | instskip(NEXT) | instid1(VALU_DEP_1)
	v_cndmask_b32_e64 v5, 0, 1, s1
	v_and_or_b32 v5, 0xffe, v8, v5
	v_bfe_u32 v8, v22, 20, 11
	s_delay_alu instid0(VALU_DEP_2) | instskip(NEXT) | instid1(VALU_DEP_2)
	v_or_b32_e32 v24, 0x1000, v5
	v_sub_nc_u32_e32 v21, 0x3f1, v8
	v_add_nc_u32_e32 v8, 0xfffffc10, v8
	s_delay_alu instid0(VALU_DEP_2) | instskip(NEXT) | instid1(VALU_DEP_1)
	v_med3_i32 v21, v21, 0, 13
	v_lshrrev_b32_e32 v25, v21, v24
	s_delay_alu instid0(VALU_DEP_1) | instskip(NEXT) | instid1(VALU_DEP_1)
	v_lshlrev_b32_e32 v21, v21, v25
	v_cmp_ne_u32_e64 s1, v21, v24
	v_lshl_or_b32 v24, v8, 12, v5
	s_delay_alu instid0(VALU_DEP_2) | instskip(SKIP_1) | instid1(VALU_DEP_2)
	v_cndmask_b32_e64 v21, 0, 1, s1
	v_cmp_gt_i32_e64 s1, 1, v8
	v_or_b32_e32 v21, v25, v21
	s_delay_alu instid0(VALU_DEP_1) | instskip(NEXT) | instid1(VALU_DEP_1)
	v_cndmask_b32_e64 v21, v24, v21, s1
	v_and_b32_e32 v24, 7, v21
	v_lshrrev_b32_e32 v21, 2, v21
	s_delay_alu instid0(VALU_DEP_2) | instskip(SKIP_4) | instid1(VALU_DEP_4)
	v_cmp_lt_i32_e64 s1, 5, v24
	v_cmp_eq_u32_e64 s3, 3, v24
	v_cndmask_b32_e64 v24, 0, 1, s2
	v_cmp_ne_u32_e64 s2, 0, v5
	v_add_nc_u32_e32 v5, 0xfffffc10, v31
	s_or_b32 s1, s3, s1
	s_delay_alu instid0(VALU_DEP_3) | instskip(SKIP_1) | instid1(VALU_DEP_3)
	v_or_b32_e32 v24, v32, v24
	v_add_co_ci_u32_e64 v21, s1, 0, v21, s1
	v_lshl_or_b32 v25, v5, 12, v30
	v_cmp_gt_i32_e64 s4, 1, v5
	v_cmp_gt_i32_e64 s1, 31, v8
	v_cmp_ne_u32_e64 s3, 0, v30
	s_delay_alu instid0(VALU_DEP_3) | instskip(SKIP_1) | instid1(VALU_DEP_4)
	v_cndmask_b32_e64 v24, v25, v24, s4
	v_cndmask_b32_e64 v25, 0, 1, s2
	;; [unrolled: 1-line block ×3, first 2 shown]
	v_cmp_eq_u32_e64 s1, 0x40f, v8
	s_delay_alu instid0(VALU_DEP_3) | instskip(NEXT) | instid1(VALU_DEP_1)
	v_lshl_or_b32 v25, v25, 9, 0x7c00
	v_cndmask_b32_e64 v8, v21, v25, s1
	v_lshrrev_b32_e32 v21, 16, v22
	v_and_b32_e32 v22, 7, v24
	s_delay_alu instid0(VALU_DEP_2) | instskip(NEXT) | instid1(VALU_DEP_2)
	v_and_or_b32 v8, 0x8000, v21, v8
	v_cmp_lt_i32_e64 s1, 5, v22
	v_cmp_eq_u32_e64 s2, 3, v22
	v_lshrrev_b32_e32 v22, 2, v24
	v_cndmask_b32_e64 v24, 0, 1, s3
	v_and_b32_e32 v8, 0xffff, v8
	s_delay_alu instid0(VALU_DEP_4)
	s_or_b32 s1, s2, s1
	s_delay_alu instid0(VALU_DEP_3) | instid1(SALU_CYCLE_1)
	v_add_co_ci_u32_e64 v22, s1, 0, v22, s1
	v_cmp_gt_i32_e64 s1, 31, v5
	v_lshl_or_b32 v24, v24, 9, 0x7c00
	s_delay_alu instid0(VALU_DEP_2) | instskip(SKIP_1) | instid1(VALU_DEP_1)
	v_cndmask_b32_e64 v22, 0x7c00, v22, s1
	v_cmp_eq_u32_e64 s1, 0x40f, v5
	v_cndmask_b32_e64 v5, v22, v24, s1
	v_lshrrev_b32_e32 v22, 16, v23
	scratch_load_b32 v23, off, off offset:40 ; 4-byte Folded Reload
	v_and_or_b32 v5, 0x8000, v22, v5
	s_delay_alu instid0(VALU_DEP_1) | instskip(SKIP_3) | instid1(VALU_DEP_1)
	v_lshl_or_b32 v5, v5, 16, v8
	global_store_b32 v[19:20], v5, off
	v_cvt_f32_f16_e32 v5, v34
	v_add_co_u32 v19, s1, v19, s11
	v_add_co_ci_u32_e64 v20, s1, s10, v20, s1
	s_delay_alu instid0(VALU_DEP_3) | instskip(NEXT) | instid1(VALU_DEP_1)
	v_cvt_f64_f32_e32 v[21:22], v5
	v_mul_f64 v[21:22], v[21:22], s[6:7]
	s_delay_alu instid0(VALU_DEP_1) | instskip(SKIP_3) | instid1(VALU_DEP_4)
	v_and_or_b32 v5, 0x1ff, v22, v21
	v_lshrrev_b32_e32 v8, 8, v22
	v_bfe_u32 v25, v22, 20, 11
	v_lshrrev_b32_e32 v22, 16, v22
	v_cmp_ne_u32_e64 s1, 0, v5
	s_delay_alu instid0(VALU_DEP_1) | instskip(NEXT) | instid1(VALU_DEP_1)
	v_cndmask_b32_e64 v5, 0, 1, s1
	v_and_or_b32 v21, 0xffe, v8, v5
	v_sub_nc_u32_e32 v5, 0x3f1, v25
	s_delay_alu instid0(VALU_DEP_2) | instskip(NEXT) | instid1(VALU_DEP_2)
	v_or_b32_e32 v8, 0x1000, v21
	v_med3_i32 v5, v5, 0, 13
	s_delay_alu instid0(VALU_DEP_1) | instskip(NEXT) | instid1(VALU_DEP_1)
	v_lshrrev_b32_e32 v26, v5, v8
	v_lshlrev_b32_e32 v5, v5, v26
	s_delay_alu instid0(VALU_DEP_1) | instskip(SKIP_3) | instid1(VALU_DEP_1)
	v_cmp_ne_u32_e64 s1, v5, v8
	scratch_load_b32 v8, off, off offset:44 ; 4-byte Folded Reload
	v_lshrrev_b32_e32 v5, 16, v7
	s_waitcnt vmcnt(0)
	v_mul_f16_e32 v27, v8, v5
	v_mul_f16_e32 v8, v8, v7
	s_delay_alu instid0(VALU_DEP_2) | instskip(SKIP_1) | instid1(VALU_DEP_3)
	v_fmac_f16_e32 v27, v23, v7
	v_mul_f16_e32 v7, v38, v15
	v_fma_f16 v28, v23, v5, -v8
	s_delay_alu instid0(VALU_DEP_2) | instskip(NEXT) | instid1(VALU_DEP_1)
	v_fmac_f16_e32 v7, v37, v0
	v_cvt_f32_f16_e32 v0, v7
	s_delay_alu instid0(VALU_DEP_1) | instskip(NEXT) | instid1(VALU_DEP_1)
	v_cvt_f64_f32_e32 v[7:8], v0
	v_mul_f64 v[7:8], v[7:8], s[6:7]
	s_delay_alu instid0(VALU_DEP_1) | instskip(SKIP_1) | instid1(VALU_DEP_2)
	v_and_or_b32 v0, 0x1ff, v8, v7
	v_lshrrev_b32_e32 v5, 8, v8
	v_cmp_ne_u32_e64 s2, 0, v0
	s_delay_alu instid0(VALU_DEP_1) | instskip(NEXT) | instid1(VALU_DEP_1)
	v_cndmask_b32_e64 v0, 0, 1, s2
	v_and_or_b32 v0, 0xffe, v5, v0
	v_bfe_u32 v5, v8, 20, 11
	s_delay_alu instid0(VALU_DEP_2) | instskip(NEXT) | instid1(VALU_DEP_2)
	v_or_b32_e32 v15, 0x1000, v0
	v_sub_nc_u32_e32 v7, 0x3f1, v5
	v_add_nc_u32_e32 v5, 0xfffffc10, v5
	s_delay_alu instid0(VALU_DEP_2) | instskip(NEXT) | instid1(VALU_DEP_1)
	v_med3_i32 v7, v7, 0, 13
	v_lshrrev_b32_e32 v23, v7, v15
	s_delay_alu instid0(VALU_DEP_1) | instskip(NEXT) | instid1(VALU_DEP_1)
	v_lshlrev_b32_e32 v7, v7, v23
	v_cmp_ne_u32_e64 s2, v7, v15
	v_lshl_or_b32 v15, v5, 12, v0
	s_delay_alu instid0(VALU_DEP_2) | instskip(SKIP_1) | instid1(VALU_DEP_2)
	v_cndmask_b32_e64 v7, 0, 1, s2
	v_cmp_gt_i32_e64 s2, 1, v5
	v_or_b32_e32 v7, v23, v7
	s_delay_alu instid0(VALU_DEP_1) | instskip(SKIP_1) | instid1(VALU_DEP_1)
	v_cndmask_b32_e64 v7, v15, v7, s2
	v_cvt_f32_f16_e32 v15, v33
	v_cvt_f64_f32_e32 v[23:24], v15
	s_delay_alu instid0(VALU_DEP_1) | instskip(NEXT) | instid1(VALU_DEP_1)
	v_mul_f64 v[23:24], v[23:24], s[6:7]
	v_and_or_b32 v15, 0x1ff, v24, v23
	v_lshrrev_b32_e32 v23, 8, v24
	s_delay_alu instid0(VALU_DEP_2) | instskip(NEXT) | instid1(VALU_DEP_1)
	v_cmp_ne_u32_e64 s2, 0, v15
	v_cndmask_b32_e64 v15, 0, 1, s2
	s_delay_alu instid0(VALU_DEP_1) | instskip(SKIP_2) | instid1(VALU_DEP_2)
	v_and_or_b32 v23, 0xffe, v23, v15
	v_and_b32_e32 v15, 7, v7
	v_lshrrev_b32_e32 v7, 2, v7
	v_cmp_lt_i32_e64 s2, 5, v15
	v_cmp_eq_u32_e64 s3, 3, v15
	v_cndmask_b32_e64 v15, 0, 1, s0
	v_cmp_ne_u32_e64 s0, 0, v0
	v_add_nc_u32_e32 v0, 0xfffffc10, v17
	s_delay_alu instid0(VALU_DEP_4) | instskip(NEXT) | instid1(VALU_DEP_3)
	s_or_b32 s2, s3, s2
	v_or_b32_e32 v15, v18, v15
	v_add_co_ci_u32_e64 v7, s2, 0, v7, s2
	s_delay_alu instid0(VALU_DEP_3) | instskip(SKIP_3) | instid1(VALU_DEP_3)
	v_lshl_or_b32 v17, v0, 12, v16
	v_cmp_gt_i32_e64 s4, 1, v0
	v_cmp_gt_i32_e64 s2, 31, v5
	v_cmp_ne_u32_e64 s3, 0, v16
	v_cndmask_b32_e64 v15, v17, v15, s4
	v_cndmask_b32_e64 v17, 0, 1, s0
	s_delay_alu instid0(VALU_DEP_4) | instskip(SKIP_1) | instid1(VALU_DEP_3)
	v_cndmask_b32_e64 v7, 0x7c00, v7, s2
	v_cmp_eq_u32_e64 s0, 0x40f, v5
	v_lshl_or_b32 v17, v17, 9, 0x7c00
	s_delay_alu instid0(VALU_DEP_1) | instskip(SKIP_3) | instid1(VALU_DEP_3)
	v_cndmask_b32_e64 v5, v7, v17, s0
	v_and_b32_e32 v7, 7, v15
	v_lshrrev_b32_e32 v17, 16, v8
	v_cndmask_b32_e64 v8, 0, 1, s3
	v_cmp_lt_i32_e64 s0, 5, v7
	v_cmp_eq_u32_e64 s2, 3, v7
	v_lshrrev_b32_e32 v7, 2, v15
	s_delay_alu instid0(VALU_DEP_4) | instskip(SKIP_1) | instid1(VALU_DEP_4)
	v_lshl_or_b32 v8, v8, 9, 0x7c00
	v_and_or_b32 v5, 0x8000, v17, v5
	s_or_b32 s0, s2, s0
	s_delay_alu instid0(VALU_DEP_3) | instid1(SALU_CYCLE_1)
	v_add_co_ci_u32_e64 v7, s0, 0, v7, s0
	v_cmp_gt_i32_e64 s0, 31, v0
	s_delay_alu instid0(VALU_DEP_3) | instskip(NEXT) | instid1(VALU_DEP_2)
	v_and_b32_e32 v5, 0xffff, v5
	v_cndmask_b32_e64 v7, 0x7c00, v7, s0
	v_cmp_eq_u32_e64 s0, 0x40f, v0
	v_cvt_f32_f16_e32 v0, v27
	v_bfe_u32 v27, v24, 20, 11
	v_lshrrev_b32_e32 v24, 16, v24
	s_delay_alu instid0(VALU_DEP_4) | instskip(NEXT) | instid1(VALU_DEP_4)
	v_cndmask_b32_e64 v18, v7, v8, s0
	v_cvt_f64_f32_e32 v[7:8], v0
	v_lshrrev_b32_e32 v0, 16, v11
	scratch_load_b32 v11, off, off offset:36 ; 4-byte Folded Reload
	v_and_or_b32 v0, 0x8000, v0, v18
	s_delay_alu instid0(VALU_DEP_1)
	v_lshl_or_b32 v0, v0, 16, v5
	global_store_b32 v[19:20], v0, off
	v_lshrrev_b32_e32 v0, 16, v4
	v_mul_f64 v[15:16], v[7:8], s[6:7]
	v_sub_nc_u32_e32 v7, 0x3f1, v27
	v_or_b32_e32 v8, 0x1000, v23
	v_add_nc_u32_e32 v27, 0xfffffc10, v27
	s_delay_alu instid0(VALU_DEP_3) | instskip(NEXT) | instid1(VALU_DEP_1)
	v_med3_i32 v7, v7, 0, 13
	v_lshrrev_b32_e32 v17, v7, v8
	s_delay_alu instid0(VALU_DEP_1) | instskip(SKIP_1) | instid1(VALU_DEP_2)
	v_lshlrev_b32_e32 v5, v7, v17
	v_add_co_u32 v7, s2, v19, s11
	v_cmp_ne_u32_e64 s0, v5, v8
	v_add_co_ci_u32_e64 v8, s2, s10, v20, s2
	v_and_or_b32 v5, 0x1ff, v16, v15
	scratch_load_b32 v15, off, off offset:32 ; 4-byte Folded Reload
	v_bfe_u32 v19, v16, 20, 11
	v_cmp_ne_u32_e64 s2, 0, v5
	v_lshrrev_b32_e32 v5, 8, v16
	v_lshrrev_b32_e32 v16, 16, v16
	s_waitcnt vmcnt(1)
	v_mul_f16_e32 v18, v11, v0
	v_mul_f16_e32 v11, v11, v4
	s_waitcnt vmcnt(0)
	s_delay_alu instid0(VALU_DEP_2) | instskip(SKIP_1) | instid1(VALU_DEP_3)
	v_fmac_f16_e32 v18, v15, v4
	v_cndmask_b32_e64 v4, 0, 1, s2
	v_fma_f16 v0, v15, v0, -v11
	v_cvt_f32_f16_e32 v11, v14
	s_delay_alu instid0(VALU_DEP_4) | instskip(NEXT) | instid1(VALU_DEP_4)
	v_cvt_f32_f16_e32 v18, v18
	v_and_or_b32 v20, 0xffe, v5, v4
	v_sub_nc_u32_e32 v4, 0x3f1, v19
	v_cvt_f32_f16_e32 v0, v0
	v_add_nc_u32_e32 v19, 0xfffffc10, v19
	s_delay_alu instid0(VALU_DEP_4) | instskip(NEXT) | instid1(VALU_DEP_4)
	v_or_b32_e32 v5, 0x1000, v20
	v_med3_i32 v4, v4, 0, 13
	s_delay_alu instid0(VALU_DEP_1) | instskip(NEXT) | instid1(VALU_DEP_1)
	v_lshrrev_b32_e32 v29, v4, v5
	v_lshlrev_b32_e32 v4, v4, v29
	s_delay_alu instid0(VALU_DEP_1) | instskip(SKIP_1) | instid1(VALU_DEP_1)
	v_cmp_ne_u32_e64 s2, v4, v5
	v_cvt_f64_f32_e32 v[4:5], v11
	v_mul_f64 v[4:5], v[4:5], s[6:7]
	s_delay_alu instid0(VALU_DEP_1) | instskip(SKIP_1) | instid1(VALU_DEP_2)
	v_and_or_b32 v4, 0x1ff, v5, v4
	v_lshrrev_b32_e32 v11, 8, v5
	v_cmp_ne_u32_e64 s3, 0, v4
	s_delay_alu instid0(VALU_DEP_1) | instskip(NEXT) | instid1(VALU_DEP_1)
	v_cndmask_b32_e64 v4, 0, 1, s3
	v_and_or_b32 v4, 0xffe, v11, v4
	v_cndmask_b32_e64 v11, 0, 1, vcc_lo
	s_delay_alu instid0(VALU_DEP_1) | instskip(SKIP_1) | instid1(VALU_DEP_1)
	v_or_b32_e32 v11, v12, v11
	v_add_nc_u32_e32 v12, 0xfffffc10, v10
	v_lshl_or_b32 v10, v12, 12, v2
	v_cmp_gt_i32_e32 vcc_lo, 1, v12
	s_delay_alu instid0(VALU_DEP_2) | instskip(SKIP_1) | instid1(VALU_DEP_1)
	v_cndmask_b32_e32 v14, v10, v11, vcc_lo
	v_cvt_f32_f16_e32 v10, v28
	v_cvt_f64_f32_e32 v[10:11], v10
	s_delay_alu instid0(VALU_DEP_1) | instskip(NEXT) | instid1(VALU_DEP_1)
	v_mul_f64 v[10:11], v[10:11], s[6:7]
	v_and_or_b32 v10, 0x1ff, v11, v10
	v_lshrrev_b32_e32 v15, 8, v11
	s_delay_alu instid0(VALU_DEP_2) | instskip(SKIP_1) | instid1(VALU_DEP_1)
	v_cmp_ne_u32_e32 vcc_lo, 0, v10
	v_cndmask_b32_e64 v10, 0, 1, vcc_lo
	v_and_or_b32 v10, 0xffe, v15, v10
	v_and_b32_e32 v15, 7, v14
	v_lshrrev_b32_e32 v14, 2, v14
	s_delay_alu instid0(VALU_DEP_2) | instskip(SKIP_4) | instid1(VALU_DEP_4)
	v_cmp_lt_i32_e32 vcc_lo, 5, v15
	v_cmp_eq_u32_e64 s3, 3, v15
	v_cndmask_b32_e64 v15, 0, 1, s1
	v_cmp_ne_u32_e64 s1, 0, v2
	v_add_nc_u32_e32 v2, 0xfffffc10, v25
	s_or_b32 vcc_lo, s3, vcc_lo
	s_delay_alu instid0(VALU_DEP_3) | instskip(SKIP_1) | instid1(VALU_DEP_3)
	v_or_b32_e32 v15, v26, v15
	v_add_co_ci_u32_e32 v14, vcc_lo, 0, v14, vcc_lo
	v_lshl_or_b32 v25, v2, 12, v21
	v_cmp_gt_i32_e64 s4, 1, v2
	v_cmp_gt_i32_e32 vcc_lo, 31, v12
	s_delay_alu instid0(VALU_DEP_2) | instskip(SKIP_3) | instid1(VALU_DEP_3)
	v_cndmask_b32_e64 v15, v25, v15, s4
	v_cndmask_b32_e64 v25, 0, 1, s1
	v_cndmask_b32_e32 v14, 0x7c00, v14, vcc_lo
	v_cmp_eq_u32_e32 vcc_lo, 0x40f, v12
	v_lshl_or_b32 v25, v25, 9, 0x7c00
	s_delay_alu instid0(VALU_DEP_1) | instskip(SKIP_2) | instid1(VALU_DEP_3)
	v_cndmask_b32_e32 v12, v14, v25, vcc_lo
	v_and_b32_e32 v14, 7, v15
	v_lshrrev_b32_e32 v15, 2, v15
	v_and_or_b32 v25, 0x8000, v13, v12
	s_delay_alu instid0(VALU_DEP_3) | instskip(SKIP_2) | instid1(VALU_DEP_4)
	v_cmp_lt_i32_e32 vcc_lo, 5, v14
	v_cmp_eq_u32_e64 s1, 3, v14
	v_bfe_u32 v14, v5, 20, 11
	v_and_b32_e32 v25, 0xffff, v25
	s_delay_alu instid0(VALU_DEP_3) | instskip(NEXT) | instid1(VALU_DEP_2)
	s_or_b32 vcc_lo, s1, vcc_lo
	v_sub_nc_u32_e32 v12, 0x3f1, v14
	v_add_co_ci_u32_e32 v13, vcc_lo, 0, v15, vcc_lo
	v_cmp_ne_u32_e32 vcc_lo, 0, v21
	s_delay_alu instid0(VALU_DEP_3) | instskip(SKIP_2) | instid1(VALU_DEP_2)
	v_med3_i32 v12, v12, 0, 13
	v_cndmask_b32_e64 v15, 0, 1, vcc_lo
	v_cmp_gt_i32_e32 vcc_lo, 31, v2
	v_lshl_or_b32 v15, v15, 9, 0x7c00
	v_cndmask_b32_e32 v13, 0x7c00, v13, vcc_lo
	v_cmp_eq_u32_e32 vcc_lo, 0x40f, v2
	v_or_b32_e32 v2, 0x1000, v4
	s_delay_alu instid0(VALU_DEP_3) | instskip(NEXT) | instid1(VALU_DEP_2)
	v_cndmask_b32_e32 v15, v13, v15, vcc_lo
	v_lshrrev_b32_e32 v21, v12, v2
	v_cndmask_b32_e64 v13, 0, 1, s0
	s_delay_alu instid0(VALU_DEP_2) | instskip(NEXT) | instid1(VALU_DEP_2)
	v_lshlrev_b32_e32 v26, v12, v21
	v_or_b32_e32 v17, v17, v13
	v_cvt_f64_f32_e32 v[12:13], v18
	v_add_nc_u32_e32 v18, 0xfffffc10, v14
	v_and_or_b32 v14, 0x8000, v22, v15
	v_cmp_ne_u32_e32 vcc_lo, v26, v2
	v_lshl_or_b32 v15, v27, 12, v23
	v_bfe_u32 v22, v11, 20, 11
	s_delay_alu instid0(VALU_DEP_4)
	v_lshl_or_b32 v25, v14, 16, v25
	v_cndmask_b32_e64 v2, 0, 1, vcc_lo
	v_cmp_gt_i32_e32 vcc_lo, 1, v27
	global_store_b32 v[7:8], v25, off
	v_or_b32_e32 v2, v21, v2
	v_lshl_or_b32 v21, v18, 12, v4
	v_cndmask_b32_e32 v15, v15, v17, vcc_lo
	v_cmp_gt_i32_e32 vcc_lo, 1, v18
	v_sub_nc_u32_e32 v17, 0x3f1, v22
	s_delay_alu instid0(VALU_DEP_3) | instskip(SKIP_1) | instid1(VALU_DEP_3)
	v_dual_cndmask_b32 v2, v21, v2 :: v_dual_and_b32 v21, 7, v15
	v_lshrrev_b32_e32 v15, 2, v15
	v_med3_i32 v17, v17, 0, 13
	s_delay_alu instid0(VALU_DEP_3) | instskip(NEXT) | instid1(VALU_DEP_4)
	v_and_b32_e32 v14, 7, v2
	v_cmp_lt_i32_e32 vcc_lo, 5, v21
	v_cmp_eq_u32_e64 s0, 3, v21
	v_or_b32_e32 v21, 0x1000, v10
	v_lshrrev_b32_e32 v2, 2, v2
	v_cmp_lt_i32_e64 s1, 5, v14
	v_cmp_eq_u32_e64 s3, 3, v14
	s_or_b32 vcc_lo, s0, vcc_lo
	v_add_co_ci_u32_e32 v14, vcc_lo, 0, v15, vcc_lo
	v_cmp_ne_u32_e32 vcc_lo, 0, v23
	v_mul_f64 v[12:13], v[12:13], s[6:7]
	v_lshrrev_b32_e32 v23, v17, v21
	v_cndmask_b32_e64 v15, 0, 1, vcc_lo
	v_cmp_gt_i32_e32 vcc_lo, 31, v27
	s_delay_alu instid0(VALU_DEP_2)
	v_lshl_or_b32 v28, v15, 9, 0x7c00
	v_cndmask_b32_e32 v26, 0x7c00, v14, vcc_lo
	v_cmp_eq_u32_e32 vcc_lo, 0x40f, v27
	v_cvt_f64_f32_e32 v[14:15], v0
	v_lshlrev_b32_e32 v0, v17, v23
	v_lshl_or_b32 v27, v19, 12, v20
	v_cndmask_b32_e32 v17, v26, v28, vcc_lo
	s_or_b32 vcc_lo, s3, s1
	v_cndmask_b32_e64 v26, 0, 1, s2
	v_add_co_ci_u32_e32 v2, vcc_lo, 0, v2, vcc_lo
	v_cmp_ne_u32_e32 vcc_lo, 0, v4
	v_and_or_b32 v17, 0x8000, v24, v17
	s_delay_alu instid0(VALU_DEP_4) | instskip(SKIP_4) | instid1(VALU_DEP_3)
	v_or_b32_e32 v26, v29, v26
	scratch_load_b32 v24, off, off offset:28 ; 4-byte Folded Reload
	v_cndmask_b32_e64 v4, 0, 1, vcc_lo
	v_cmp_gt_i32_e32 vcc_lo, 31, v18
	v_and_b32_e32 v17, 0xffff, v17
	v_lshl_or_b32 v4, v4, 9, 0x7c00
	v_cndmask_b32_e32 v2, 0x7c00, v2, vcc_lo
	v_cmp_gt_i32_e32 vcc_lo, 1, v19
	v_cndmask_b32_e32 v26, v27, v26, vcc_lo
	v_cmp_eq_u32_e32 vcc_lo, 0x40f, v18
	v_add_nc_u32_e32 v18, 0xfffffc10, v22
	v_cndmask_b32_e32 v2, v2, v4, vcc_lo
	v_lshrrev_b32_e32 v4, 16, v5
	v_and_b32_e32 v5, 7, v26
	v_cmp_ne_u32_e32 vcc_lo, v0, v21
	v_lshl_or_b32 v21, v18, 12, v10
	v_cmp_gt_i32_e64 s0, 1, v18
	v_and_or_b32 v2, 0x8000, v4, v2
	v_and_or_b32 v4, 0x1ff, v13, v12
	v_lshrrev_b32_e32 v12, 2, v26
	scratch_load_b32 v26, off, off offset:24 ; 4-byte Folded Reload
	v_cndmask_b32_e64 v0, 0, 1, vcc_lo
	v_mul_f64 v[14:15], v[14:15], s[6:7]
	v_cmp_lt_i32_e32 vcc_lo, 5, v5
	v_cmp_ne_u32_e64 s1, 0, v4
	v_lshl_or_b32 v2, v2, 16, v17
	v_or_b32_e32 v0, v23, v0
	s_delay_alu instid0(VALU_DEP_3) | instskip(NEXT) | instid1(VALU_DEP_2)
	v_cndmask_b32_e64 v4, 0, 1, s1
	v_cndmask_b32_e64 v0, v21, v0, s0
	v_cmp_eq_u32_e64 s0, 3, v5
	v_lshrrev_b32_e32 v21, 16, v9
	s_delay_alu instid0(VALU_DEP_3) | instskip(NEXT) | instid1(VALU_DEP_3)
	v_and_b32_e32 v5, 7, v0
	s_or_b32 vcc_lo, s0, vcc_lo
	v_lshrrev_b32_e32 v0, 2, v0
	v_add_co_ci_u32_e32 v12, vcc_lo, 0, v12, vcc_lo
	s_delay_alu instid0(VALU_DEP_3) | instskip(SKIP_4) | instid1(VALU_DEP_3)
	v_cmp_lt_i32_e64 s1, 5, v5
	v_cmp_eq_u32_e64 s2, 3, v5
	v_lshrrev_b32_e32 v5, 8, v13
	v_cmp_ne_u32_e32 vcc_lo, 0, v20
	v_bfe_u32 v20, v13, 20, 11
	v_and_or_b32 v23, 0xffe, v5, v4
	v_cndmask_b32_e64 v4, 0, 1, vcc_lo
	v_cmp_gt_i32_e32 vcc_lo, 31, v19
	s_delay_alu instid0(VALU_DEP_3)
	v_or_b32_e32 v25, 0x1000, v23
	v_cndmask_b32_e32 v12, 0x7c00, v12, vcc_lo
	v_cmp_eq_u32_e32 vcc_lo, 0x40f, v19
	v_and_or_b32 v14, 0x1ff, v15, v14
	s_waitcnt vmcnt(1)
	v_mul_f16_e32 v22, v24, v21
	s_waitcnt vmcnt(0)
	s_delay_alu instid0(VALU_DEP_1) | instskip(SKIP_3) | instid1(VALU_DEP_4)
	v_fmac_f16_e32 v22, v26, v9
	v_mul_f16_e32 v9, v24, v9
	v_sub_nc_u32_e32 v24, 0x3f1, v20
	v_add_nc_u32_e32 v20, 0xfffffc10, v20
	v_cvt_f32_f16_e32 v5, v22
	v_lshl_or_b32 v22, v4, 9, 0x7c00
	s_delay_alu instid0(VALU_DEP_4)
	v_med3_i32 v24, v24, 0, 13
	v_fma_f16 v9, v26, v21, -v9
	v_bfe_u32 v26, v15, 20, 11
	v_cvt_f64_f32_e32 v[4:5], v5
	v_cndmask_b32_e32 v19, v12, v22, vcc_lo
	s_or_b32 vcc_lo, s2, s1
	v_lshrrev_b32_e32 v12, v24, v25
	v_add_co_ci_u32_e32 v0, vcc_lo, 0, v0, vcc_lo
	v_cmp_ne_u32_e32 vcc_lo, 0, v10
	v_cvt_f32_f16_e32 v9, v9
	s_delay_alu instid0(VALU_DEP_4) | instskip(SKIP_4) | instid1(VALU_DEP_2)
	v_lshlrev_b32_e32 v21, v24, v12
	v_lshrrev_b32_e32 v24, 8, v15
	v_lshrrev_b32_e32 v15, 16, v15
	v_cndmask_b32_e64 v10, 0, 1, vcc_lo
	v_cmp_gt_i32_e32 vcc_lo, 31, v18
	v_lshl_or_b32 v22, v10, 9, 0x7c00
	v_cndmask_b32_e32 v0, 0x7c00, v0, vcc_lo
	v_cmp_ne_u32_e32 vcc_lo, 0, v14
	v_cvt_f64_f32_e32 v[9:10], v9
	v_cndmask_b32_e64 v14, 0, 1, vcc_lo
	v_cmp_ne_u32_e32 vcc_lo, v21, v25
	v_lshrrev_b32_e32 v25, 16, v11
	s_delay_alu instid0(VALU_DEP_3) | instskip(SKIP_3) | instid1(VALU_DEP_3)
	v_and_or_b32 v14, 0xffe, v24, v14
	v_cndmask_b32_e64 v21, 0, 1, vcc_lo
	v_cmp_eq_u32_e32 vcc_lo, 0x40f, v18
	v_sub_nc_u32_e32 v24, 0x3f1, v26
	v_or_b32_e32 v18, v12, v21
	v_cndmask_b32_e32 v0, v0, v22, vcc_lo
	v_lshl_or_b32 v21, v20, 12, v23
	v_cmp_gt_i32_e32 vcc_lo, 1, v20
	v_mul_f64 v[11:12], v[4:5], s[6:7]
	v_or_b32_e32 v22, 0x1000, v14
	v_and_or_b32 v0, 0x8000, v25, v0
	scratch_load_b32 v25, off, off offset:20 ; 4-byte Folded Reload
	v_cndmask_b32_e32 v5, v21, v18, vcc_lo
	v_add_nc_u32_e32 v21, 0xfffffc10, v26
	scratch_load_b32 v26, off, off offset:16 ; 4-byte Folded Reload
	v_med3_i32 v24, v24, 0, 13
	v_and_or_b32 v4, 0x8000, v16, v19
	v_and_b32_e32 v17, 7, v5
	v_add_co_u32 v7, vcc_lo, v7, s8
	s_delay_alu instid0(VALU_DEP_4) | instskip(SKIP_1) | instid1(VALU_DEP_4)
	v_lshrrev_b32_e32 v16, v24, v22
	v_add_co_ci_u32_e32 v8, vcc_lo, s9, v8, vcc_lo
	v_cmp_lt_i32_e32 vcc_lo, 5, v17
	v_cmp_eq_u32_e64 s0, 3, v17
	s_delay_alu instid0(VALU_DEP_4)
	v_lshlrev_b32_e32 v18, v24, v16
	v_lshrrev_b32_e32 v19, 16, v6
	v_lshrrev_b32_e32 v5, 2, v5
	v_mul_f64 v[9:10], v[9:10], s[6:7]
	s_or_b32 vcc_lo, s0, vcc_lo
	v_cmp_ne_u32_e64 s1, v18, v22
	v_lshl_or_b32 v22, v21, 12, v14
	v_add_co_ci_u32_e32 v5, vcc_lo, 0, v5, vcc_lo
	v_cmp_ne_u32_e32 vcc_lo, 0, v23
	s_delay_alu instid0(VALU_DEP_4) | instskip(SKIP_2) | instid1(VALU_DEP_3)
	v_cndmask_b32_e64 v18, 0, 1, s1
	v_and_b32_e32 v4, 0xffff, v4
	v_cndmask_b32_e64 v23, 0, 1, vcc_lo
	v_or_b32_e32 v18, v16, v18
	v_cmp_gt_i32_e32 vcc_lo, 1, v21
	s_delay_alu instid0(VALU_DEP_4) | instskip(NEXT) | instid1(VALU_DEP_4)
	v_lshl_or_b32 v0, v0, 16, v4
	v_lshl_or_b32 v23, v23, 9, 0x7c00
	s_delay_alu instid0(VALU_DEP_4) | instskip(SKIP_2) | instid1(VALU_DEP_3)
	v_cndmask_b32_e32 v18, v22, v18, vcc_lo
	v_cmp_gt_i32_e32 vcc_lo, 31, v20
	v_and_or_b32 v11, 0x1ff, v12, v11
	v_and_b32_e32 v24, 7, v18
	v_cndmask_b32_e32 v22, 0x7c00, v5, vcc_lo
	v_add_co_u32 v4, vcc_lo, v7, s11
	v_add_co_ci_u32_e32 v5, vcc_lo, s10, v8, vcc_lo
	v_cmp_eq_u32_e32 vcc_lo, 0x40f, v20
	v_cmp_ne_u32_e64 s0, 0, v11
	v_cndmask_b32_e32 v20, v22, v23, vcc_lo
	v_cmp_lt_i32_e32 vcc_lo, 5, v24
	s_delay_alu instid0(VALU_DEP_3)
	v_cndmask_b32_e64 v11, 0, 1, s0
	v_cmp_eq_u32_e64 s0, 3, v24
	v_lshrrev_b32_e32 v24, 16, v13
	v_lshrrev_b32_e32 v13, 2, v18
	v_and_or_b32 v9, 0x1ff, v10, v9
	v_lshrrev_b32_e32 v27, 8, v10
	s_or_b32 vcc_lo, s0, vcc_lo
	v_and_or_b32 v20, 0x8000, v24, v20
	v_add_co_ci_u32_e32 v13, vcc_lo, 0, v13, vcc_lo
	v_cmp_ne_u32_e32 vcc_lo, 0, v14
	scratch_load_b32 v24, off, off offset:8 ; 4-byte Folded Reload
	v_lshrrev_b32_e32 v22, 8, v12
	v_bfe_u32 v23, v12, 20, 11
	v_bfe_u32 v28, v10, 20, 11
	v_cndmask_b32_e64 v14, 0, 1, vcc_lo
	v_cmp_gt_i32_e32 vcc_lo, 31, v21
	v_and_or_b32 v11, 0xffe, v22, v11
	v_sub_nc_u32_e32 v18, 0x3f1, v23
	v_lshrrev_b32_e32 v12, 16, v12
	v_lshrrev_b32_e32 v10, 16, v10
	s_delay_alu instid0(VALU_DEP_4) | instskip(NEXT) | instid1(VALU_DEP_4)
	v_or_b32_e32 v22, 0x1000, v11
	v_med3_i32 v18, v18, 0, 13
	s_waitcnt vmcnt(2)
	v_mul_f16_e32 v17, v25, v19
	s_waitcnt vmcnt(1)
	s_delay_alu instid0(VALU_DEP_1) | instskip(SKIP_2) | instid1(VALU_DEP_3)
	v_fmac_f16_e32 v17, v26, v6
	v_mul_f16_e32 v6, v25, v6
	v_lshrrev_b32_e32 v25, v18, v22
	v_cvt_f32_f16_e32 v16, v17
	s_delay_alu instid0(VALU_DEP_3)
	v_fma_f16 v6, v26, v19, -v6
	v_cndmask_b32_e32 v19, 0x7c00, v13, vcc_lo
	v_cmp_ne_u32_e32 vcc_lo, 0, v9
	v_lshl_or_b32 v26, v14, 9, 0x7c00
	v_cvt_f64_f32_e32 v[16:17], v16
	v_cvt_f32_f16_e32 v6, v6
	v_lshlrev_b32_e32 v18, v18, v25
	v_cndmask_b32_e64 v9, 0, 1, vcc_lo
	v_cmp_eq_u32_e32 vcc_lo, 0x40f, v21
	v_add_nc_u32_e32 v21, 0xfffffc10, v23
	s_delay_alu instid0(VALU_DEP_1)
	v_lshl_or_b32 v23, v21, 12, v11
	v_mul_f64 v[13:14], v[16:17], s[6:7]
	v_cvt_f64_f32_e32 v[16:17], v6
	v_cndmask_b32_e32 v6, v19, v26, vcc_lo
	v_and_or_b32 v19, 0xffe, v27, v9
	scratch_load_b32 v27, off, off offset:12 ; 4-byte Folded Reload
	v_cmp_ne_u32_e32 vcc_lo, v18, v22
	v_sub_nc_u32_e32 v9, 0x3f1, v28
	v_and_or_b32 v6, 0x8000, v15, v6
	v_or_b32_e32 v22, 0x1000, v19
	v_and_b32_e32 v15, 0xffff, v20
	v_cndmask_b32_e64 v18, 0, 1, vcc_lo
	v_med3_i32 v9, v9, 0, 13
	v_cmp_gt_i32_e32 vcc_lo, 1, v21
	global_store_b32 v[7:8], v2, off
	global_store_b32 v[4:5], v0, off
	v_lshl_or_b32 v0, v6, 16, v15
	v_or_b32_e32 v18, v25, v18
	v_lshrrev_b32_e32 v25, 16, v1
	v_lshrrev_b32_e32 v26, v9, v22
	s_delay_alu instid0(VALU_DEP_3) | instskip(NEXT) | instid1(VALU_DEP_2)
	v_dual_cndmask_b32 v18, v23, v18 :: v_dual_add_nc_u32 v15, 0xfffffc10, v28
	v_lshlrev_b32_e32 v9, v9, v26
	s_delay_alu instid0(VALU_DEP_2) | instskip(NEXT) | instid1(VALU_DEP_2)
	v_and_b32_e32 v20, 7, v18
	v_cmp_ne_u32_e64 s0, v9, v22
	s_delay_alu instid0(VALU_DEP_2) | instskip(NEXT) | instid1(VALU_DEP_2)
	v_cmp_lt_i32_e32 vcc_lo, 5, v20
	v_cndmask_b32_e64 v8, 0, 1, s0
	v_cmp_eq_u32_e64 s0, 3, v20
	v_lshl_or_b32 v20, v15, 12, v19
	s_delay_alu instid0(VALU_DEP_2) | instskip(SKIP_2) | instid1(VALU_DEP_1)
	s_or_b32 vcc_lo, s0, vcc_lo
	s_waitcnt vmcnt(0)
	v_mul_f16_e32 v23, v27, v25
	v_fmac_f16_e32 v23, v24, v1
	v_mul_f16_e32 v1, v27, v1
	s_delay_alu instid0(VALU_DEP_2) | instskip(NEXT) | instid1(VALU_DEP_2)
	v_cvt_f32_f16_e32 v2, v23
	v_fma_f16 v1, v24, v25, -v1
	scratch_load_b32 v24, off, off          ; 4-byte Folded Reload
	v_cvt_f64_f32_e32 v[6:7], v2
	v_and_or_b32 v2, 0x1ff, v14, v13
	v_lshrrev_b32_e32 v13, 2, v18
	v_or_b32_e32 v18, v26, v8
	v_mul_f64 v[8:9], v[16:17], s[6:7]
	v_lshrrev_b32_e32 v16, 8, v14
	v_cmp_ne_u32_e64 s1, 0, v2
	v_add_co_ci_u32_e32 v13, vcc_lo, 0, v13, vcc_lo
	v_cmp_gt_i32_e32 vcc_lo, 1, v15
	v_bfe_u32 v17, v14, 20, 11
	s_delay_alu instid0(VALU_DEP_4)
	v_cndmask_b32_e64 v2, 0, 1, s1
	v_cmp_eq_u32_e64 s1, 0x40f, v21
	v_cvt_f32_f16_e32 v1, v1
	v_cndmask_b32_e32 v18, v20, v18, vcc_lo
	v_cmp_ne_u32_e32 vcc_lo, 0, v11
	v_and_or_b32 v16, 0xffe, v16, v2
	v_sub_nc_u32_e32 v2, 0x3f1, v17
	v_add_nc_u32_e32 v17, 0xfffffc10, v17
	v_and_b32_e32 v20, 7, v18
	v_cndmask_b32_e64 v11, 0, 1, vcc_lo
	v_cmp_gt_i32_e32 vcc_lo, 31, v21
	v_or_b32_e32 v22, 0x1000, v16
	v_med3_i32 v2, v2, 0, 13
	v_cmp_eq_u32_e64 s0, 3, v20
	v_lshl_or_b32 v11, v11, 9, 0x7c00
	v_cndmask_b32_e32 v13, 0x7c00, v13, vcc_lo
	v_cmp_lt_i32_e32 vcc_lo, 5, v20
	v_lshrrev_b32_e32 v18, 2, v18
	v_lshrrev_b32_e32 v23, v2, v22
	;; [unrolled: 1-line block ×3, first 2 shown]
	v_cndmask_b32_e64 v11, v13, v11, s1
	s_or_b32 vcc_lo, s0, vcc_lo
	v_lshrrev_b32_e32 v14, 16, v14
	v_add_co_ci_u32_e32 v13, vcc_lo, 0, v18, vcc_lo
	v_lshlrev_b32_e32 v2, v2, v23
	v_cmp_ne_u32_e32 vcc_lo, 0, v19
	v_mul_f64 v[6:7], v[6:7], s[6:7]
	v_lshl_or_b32 v19, v17, 12, v16
	v_and_or_b32 v20, 0x8000, v12, v11
	v_cndmask_b32_e64 v18, 0, 1, vcc_lo
	v_cmp_ne_u32_e32 vcc_lo, v2, v22
	v_and_or_b32 v8, 0x1ff, v9, v8
	v_lshrrev_b32_e32 v12, 8, v9
	v_and_b32_e32 v20, 0xffff, v20
	v_lshl_or_b32 v18, v18, 9, 0x7c00
	v_cndmask_b32_e64 v2, 0, 1, vcc_lo
	v_cmp_gt_i32_e32 vcc_lo, 31, v15
	s_delay_alu instid0(VALU_DEP_2)
	v_or_b32_e32 v2, v23, v2
	scratch_load_b32 v23, off, off offset:4 ; 4-byte Folded Reload
	v_cndmask_b32_e32 v13, 0x7c00, v13, vcc_lo
	v_cmp_gt_i32_e32 vcc_lo, 1, v17
	v_cndmask_b32_e32 v11, v19, v2, vcc_lo
	v_cmp_ne_u32_e32 vcc_lo, 0, v8
	v_cvt_f64_f32_e32 v[1:2], v1
	v_bfe_u32 v19, v9, 20, 11
	v_lshrrev_b32_e32 v9, 16, v9
	v_cndmask_b32_e64 v8, 0, 1, vcc_lo
	v_cmp_eq_u32_e32 vcc_lo, 0x40f, v15
	v_and_b32_e32 v15, 7, v11
	s_delay_alu instid0(VALU_DEP_3) | instskip(SKIP_2) | instid1(VALU_DEP_4)
	v_and_or_b32 v8, 0xffe, v12, v8
	v_cndmask_b32_e32 v13, v13, v18, vcc_lo
	v_sub_nc_u32_e32 v12, 0x3f1, v19
	v_cmp_lt_i32_e32 vcc_lo, 5, v15
	v_cmp_eq_u32_e64 s0, 3, v15
	v_or_b32_e32 v22, 0x1000, v8
	v_and_or_b32 v15, 0x8000, v10, v13
	v_lshrrev_b32_e32 v10, 2, v11
	v_med3_i32 v12, v12, 0, 13
	s_or_b32 vcc_lo, s0, vcc_lo
	v_and_or_b32 v6, 0x1ff, v7, v6
	v_add_nc_u32_e32 v19, 0xfffffc10, v19
	v_lshl_or_b32 v15, v15, 16, v20
	v_lshrrev_b32_e32 v13, v12, v22
	s_delay_alu instid0(VALU_DEP_1) | instskip(SKIP_1) | instid1(VALU_DEP_1)
	v_lshlrev_b32_e32 v12, v12, v13
	v_mul_f64 v[1:2], v[1:2], s[6:7]
	v_and_or_b32 v1, 0x1ff, v2, v1
	s_waitcnt vmcnt(0)
	v_mul_f16_e32 v18, v23, v21
	s_delay_alu instid0(VALU_DEP_1) | instskip(SKIP_2) | instid1(VALU_DEP_3)
	v_fmac_f16_e32 v18, v24, v3
	v_mul_f16_e32 v3, v23, v3
	v_lshrrev_b32_e32 v23, 8, v7
	v_cvt_f32_f16_e32 v11, v18
	v_add_co_ci_u32_e32 v18, vcc_lo, 0, v10, vcc_lo
	v_cmp_ne_u32_e32 vcc_lo, 0, v16
	v_fma_f16 v3, v24, v21, -v3
	s_delay_alu instid0(VALU_DEP_4)
	v_cvt_f64_f32_e32 v[10:11], v11
	v_bfe_u32 v21, v7, 20, 11
	v_lshl_or_b32 v24, v19, 12, v8
	v_cndmask_b32_e64 v16, 0, 1, vcc_lo
	v_cmp_ne_u32_e32 vcc_lo, 0, v6
	v_cvt_f32_f16_e32 v3, v3
	v_lshrrev_b32_e32 v7, 16, v7
	s_delay_alu instid0(VALU_DEP_4) | instskip(SKIP_2) | instid1(VALU_DEP_2)
	v_lshl_or_b32 v16, v16, 9, 0x7c00
	v_cndmask_b32_e64 v6, 0, 1, vcc_lo
	v_cmp_ne_u32_e32 vcc_lo, v12, v22
	v_and_or_b32 v22, 0xffe, v23, v6
	v_cndmask_b32_e64 v12, 0, 1, vcc_lo
	v_cmp_gt_i32_e32 vcc_lo, 31, v17
	v_sub_nc_u32_e32 v6, 0x3f1, v21
	s_delay_alu instid0(VALU_DEP_4) | instskip(NEXT) | instid1(VALU_DEP_4)
	v_or_b32_e32 v25, 0x1000, v22
	v_or_b32_e32 v23, v13, v12
	v_cvt_f64_f32_e32 v[12:13], v3
	v_cndmask_b32_e32 v18, 0x7c00, v18, vcc_lo
	v_cmp_gt_i32_e32 vcc_lo, 1, v19
	v_med3_i32 v6, v6, 0, 13
	v_cndmask_b32_e32 v23, v24, v23, vcc_lo
	v_add_co_u32 v3, vcc_lo, v4, s11
	v_add_co_ci_u32_e32 v4, vcc_lo, s10, v5, vcc_lo
	s_delay_alu instid0(VALU_DEP_3) | instskip(SKIP_3) | instid1(VALU_DEP_4)
	v_and_b32_e32 v5, 7, v23
	v_cmp_eq_u32_e32 vcc_lo, 0x40f, v17
	v_lshrrev_b32_e32 v26, v6, v25
	v_add_nc_u32_e32 v17, 0xfffffc10, v21
	v_cmp_eq_u32_e64 s0, 3, v5
	v_cndmask_b32_e32 v16, v18, v16, vcc_lo
	v_cmp_lt_i32_e32 vcc_lo, 5, v5
	v_lshlrev_b32_e32 v24, v6, v26
	v_mul_f64 v[5:6], v[10:11], s[6:7]
	v_lshrrev_b32_e32 v10, 2, v23
	v_lshl_or_b32 v20, v17, 12, v22
	s_or_b32 vcc_lo, s0, vcc_lo
	v_cmp_ne_u32_e64 s1, v24, v25
	v_bfe_u32 v23, v2, 20, 11
	v_add_co_ci_u32_e32 v10, vcc_lo, 0, v10, vcc_lo
	v_cmp_ne_u32_e32 vcc_lo, 0, v8
	s_delay_alu instid0(VALU_DEP_4) | instskip(SKIP_3) | instid1(VALU_DEP_4)
	v_cndmask_b32_e64 v11, 0, 1, s1
	v_and_or_b32 v14, 0x8000, v14, v16
	v_cndmask_b32_e64 v8, 0, 1, vcc_lo
	v_cmp_gt_i32_e32 vcc_lo, 31, v19
	v_or_b32_e32 v18, v26, v11
	s_delay_alu instid0(VALU_DEP_4) | instskip(NEXT) | instid1(VALU_DEP_4)
	v_and_b32_e32 v14, 0xffff, v14
	v_lshl_or_b32 v8, v8, 9, 0x7c00
	v_cndmask_b32_e32 v21, 0x7c00, v10, vcc_lo
	v_mul_f64 v[10:11], v[12:13], s[6:7]
	v_add_co_u32 v12, vcc_lo, v3, s11
	v_add_co_ci_u32_e32 v13, vcc_lo, s10, v4, vcc_lo
	v_cmp_gt_i32_e32 vcc_lo, 1, v17
	v_cndmask_b32_e32 v18, v20, v18, vcc_lo
	v_cmp_ne_u32_e32 vcc_lo, 0, v1
	v_lshrrev_b32_e32 v20, 8, v2
	v_lshrrev_b32_e32 v2, 16, v2
	v_cndmask_b32_e64 v1, 0, 1, vcc_lo
	v_cmp_eq_u32_e32 vcc_lo, 0x40f, v19
	v_and_b32_e32 v19, 7, v18
	v_lshrrev_b32_e32 v18, 2, v18
	v_and_or_b32 v5, 0x1ff, v6, v5
	v_and_or_b32 v1, 0xffe, v20, v1
	v_cndmask_b32_e32 v8, v21, v8, vcc_lo
	v_sub_nc_u32_e32 v20, 0x3f1, v23
	v_cmp_lt_i32_e32 vcc_lo, 5, v19
	v_cmp_eq_u32_e64 s0, 3, v19
	v_bfe_u32 v21, v6, 20, 11
	v_and_or_b32 v8, 0x8000, v9, v8
	v_or_b32_e32 v9, 0x1000, v1
	v_med3_i32 v16, v20, 0, 13
	s_or_b32 vcc_lo, s0, vcc_lo
	v_lshrrev_b32_e32 v20, 8, v6
	v_add_co_ci_u32_e32 v18, vcc_lo, 0, v18, vcc_lo
	s_delay_alu instid0(VALU_DEP_3)
	v_lshrrev_b32_e32 v19, v16, v9
	v_cmp_ne_u32_e32 vcc_lo, 0, v5
	v_lshrrev_b32_e32 v6, 16, v6
	v_lshl_or_b32 v14, v8, 16, v14
	v_and_or_b32 v10, 0x1ff, v11, v10
	v_lshlrev_b32_e32 v16, v16, v19
	v_cndmask_b32_e64 v5, 0, 1, vcc_lo
	v_cmp_ne_u32_e32 vcc_lo, 0, v22
	v_lshrrev_b32_e32 v24, 8, v11
	v_bfe_u32 v25, v11, 20, 11
	s_delay_alu instid0(VALU_DEP_4)
	v_and_or_b32 v5, 0xffe, v20, v5
	v_cndmask_b32_e64 v22, 0, 1, vcc_lo
	v_cmp_ne_u32_e32 vcc_lo, v16, v9
	v_sub_nc_u32_e32 v20, 0x3f1, v21
	v_add_nc_u32_e32 v16, 0xfffffc10, v23
	v_or_b32_e32 v23, 0x1000, v5
	v_cndmask_b32_e64 v9, 0, 1, vcc_lo
	v_cmp_gt_i32_e32 vcc_lo, 31, v17
	v_med3_i32 v20, v20, 0, 13
	s_delay_alu instid0(VALU_DEP_3)
	v_or_b32_e32 v9, v19, v9
	v_cndmask_b32_e32 v18, 0x7c00, v18, vcc_lo
	v_cmp_ne_u32_e32 vcc_lo, 0, v10
	v_lshl_or_b32 v19, v16, 12, v1
	v_lshrrev_b32_e32 v26, v20, v23
	v_cndmask_b32_e64 v10, 0, 1, vcc_lo
	v_cmp_gt_i32_e32 vcc_lo, 1, v16
	s_delay_alu instid0(VALU_DEP_3) | instskip(NEXT) | instid1(VALU_DEP_3)
	v_lshlrev_b32_e32 v20, v20, v26
	v_and_or_b32 v10, 0xffe, v24, v10
	v_sub_nc_u32_e32 v24, 0x3f1, v25
	v_cndmask_b32_e32 v9, v19, v9, vcc_lo
	v_lshl_or_b32 v19, v22, 9, 0x7c00
	v_cmp_eq_u32_e32 vcc_lo, 0x40f, v17
	v_or_b32_e32 v22, 0x1000, v10
	v_med3_i32 v24, v24, 0, 13
	v_and_b32_e32 v27, 7, v9
	v_lshrrev_b32_e32 v9, 2, v9
	v_cndmask_b32_e32 v17, v18, v19, vcc_lo
	v_cmp_ne_u32_e32 vcc_lo, v20, v23
	v_add_nc_u32_e32 v19, 0xfffffc10, v21
	v_lshrrev_b32_e32 v20, v24, v22
	v_cmp_eq_u32_e64 s0, 3, v27
	v_and_or_b32 v7, 0x8000, v7, v17
	v_cndmask_b32_e64 v18, 0, 1, vcc_lo
	v_lshl_or_b32 v21, v19, 12, v5
	v_lshlrev_b32_e32 v23, v24, v20
	v_cmp_gt_i32_e64 s1, 1, v19
	v_cmp_lt_i32_e32 vcc_lo, 5, v27
	v_or_b32_e32 v18, v26, v18
	v_and_b32_e32 v7, 0xffff, v7
	s_or_b32 vcc_lo, s0, vcc_lo
	s_delay_alu instid0(VALU_DEP_2) | instskip(SKIP_3) | instid1(VALU_DEP_4)
	v_cndmask_b32_e64 v18, v21, v18, s1
	v_cmp_ne_u32_e64 s1, v23, v22
	v_add_nc_u32_e32 v22, 0xfffffc10, v25
	v_add_co_ci_u32_e32 v9, vcc_lo, 0, v9, vcc_lo
	v_and_b32_e32 v23, 7, v18
	s_delay_alu instid0(VALU_DEP_4)
	v_cndmask_b32_e64 v21, 0, 1, s1
	v_cmp_ne_u32_e32 vcc_lo, 0, v1
	v_cmp_gt_i32_e64 s0, 1, v22
	v_lshrrev_b32_e32 v18, 2, v18
	v_cmp_gt_i32_e64 s1, 31, v16
	v_or_b32_e32 v20, v20, v21
	v_lshl_or_b32 v21, v22, 12, v10
	v_cndmask_b32_e64 v1, 0, 1, vcc_lo
	v_cmp_lt_i32_e32 vcc_lo, 5, v23
	v_cndmask_b32_e64 v9, 0x7c00, v9, s1
	v_cmp_eq_u32_e64 s1, 0x40f, v16
	v_cndmask_b32_e64 v17, v21, v20, s0
	v_cmp_eq_u32_e64 s0, 3, v23
	v_lshl_or_b32 v1, v1, 9, 0x7c00
	s_delay_alu instid0(VALU_DEP_3) | instskip(NEXT) | instid1(VALU_DEP_3)
	v_and_b32_e32 v20, 7, v17
	s_or_b32 vcc_lo, s0, vcc_lo
	s_delay_alu instid0(VALU_DEP_2)
	v_cndmask_b32_e64 v1, v9, v1, s1
	v_add_co_ci_u32_e32 v18, vcc_lo, 0, v18, vcc_lo
	v_cmp_ne_u32_e32 vcc_lo, 0, v5
	v_cmp_eq_u32_e64 s0, 3, v20
	v_lshrrev_b32_e32 v9, 2, v17
	v_cmp_gt_i32_e64 s1, 31, v19
	v_and_or_b32 v8, 0x8000, v2, v1
	v_cndmask_b32_e64 v5, 0, 1, vcc_lo
	v_cmp_lt_i32_e32 vcc_lo, 5, v20
	s_delay_alu instid0(VALU_DEP_4) | instskip(NEXT) | instid1(VALU_DEP_3)
	v_cndmask_b32_e64 v16, 0x7c00, v18, s1
	v_lshl_or_b32 v5, v5, 9, 0x7c00
	s_or_b32 vcc_lo, s0, vcc_lo
	v_add_co_ci_u32_e32 v9, vcc_lo, 0, v9, vcc_lo
	v_cmp_ne_u32_e32 vcc_lo, 0, v10
	v_cndmask_b32_e64 v10, 0, 1, vcc_lo
	v_cmp_eq_u32_e32 vcc_lo, 0x40f, v19
	s_delay_alu instid0(VALU_DEP_2) | instskip(SKIP_2) | instid1(VALU_DEP_2)
	v_lshl_or_b32 v10, v10, 9, 0x7c00
	v_cndmask_b32_e32 v5, v16, v5, vcc_lo
	v_cmp_gt_i32_e32 vcc_lo, 31, v22
	v_and_or_b32 v5, 0x8000, v6, v5
	v_cndmask_b32_e32 v9, 0x7c00, v9, vcc_lo
	v_cmp_eq_u32_e32 vcc_lo, 0x40f, v22
	s_delay_alu instid0(VALU_DEP_2) | instskip(SKIP_4) | instid1(VALU_DEP_4)
	v_cndmask_b32_e32 v6, v9, v10, vcc_lo
	v_lshrrev_b32_e32 v9, 16, v11
	v_add_co_u32 v1, vcc_lo, v12, s11
	v_add_co_ci_u32_e32 v2, vcc_lo, s10, v13, vcc_lo
	v_lshl_or_b32 v10, v8, 16, v7
	v_and_or_b32 v7, 0x8000, v9, v6
	v_and_b32_e32 v8, 0xffff, v5
	v_add_co_u32 v5, vcc_lo, v1, s11
	v_add_co_ci_u32_e32 v6, vcc_lo, s10, v2, vcc_lo
	s_delay_alu instid0(VALU_DEP_3) | instskip(NEXT) | instid1(VALU_DEP_3)
	v_lshl_or_b32 v9, v7, 16, v8
	v_add_co_u32 v7, vcc_lo, v5, s11
	s_delay_alu instid0(VALU_DEP_3)
	v_add_co_ci_u32_e32 v8, vcc_lo, s10, v6, vcc_lo
	global_store_b32 v[3:4], v0, off
	global_store_b32 v[12:13], v15, off
	;; [unrolled: 1-line block ×5, first 2 shown]
.LBB0_2:
	s_nop 0
	s_sendmsg sendmsg(MSG_DEALLOC_VGPRS)
	s_endpgm
	.section	.rodata,"a",@progbits
	.p2align	6, 0x0
	.amdhsa_kernel bluestein_single_fwd_len5488_dim1_half_op_CI_CI
		.amdhsa_group_segment_fixed_size 21952
		.amdhsa_private_segment_fixed_size 208
		.amdhsa_kernarg_size 104
		.amdhsa_user_sgpr_count 15
		.amdhsa_user_sgpr_dispatch_ptr 0
		.amdhsa_user_sgpr_queue_ptr 0
		.amdhsa_user_sgpr_kernarg_segment_ptr 1
		.amdhsa_user_sgpr_dispatch_id 0
		.amdhsa_user_sgpr_private_segment_size 0
		.amdhsa_wavefront_size32 1
		.amdhsa_uses_dynamic_stack 0
		.amdhsa_enable_private_segment 1
		.amdhsa_system_sgpr_workgroup_id_x 1
		.amdhsa_system_sgpr_workgroup_id_y 0
		.amdhsa_system_sgpr_workgroup_id_z 0
		.amdhsa_system_sgpr_workgroup_info 0
		.amdhsa_system_vgpr_workitem_id 0
		.amdhsa_next_free_vgpr 256
		.amdhsa_next_free_sgpr 20
		.amdhsa_reserve_vcc 1
		.amdhsa_float_round_mode_32 0
		.amdhsa_float_round_mode_16_64 0
		.amdhsa_float_denorm_mode_32 3
		.amdhsa_float_denorm_mode_16_64 3
		.amdhsa_dx10_clamp 1
		.amdhsa_ieee_mode 1
		.amdhsa_fp16_overflow 0
		.amdhsa_workgroup_processor_mode 1
		.amdhsa_memory_ordered 1
		.amdhsa_forward_progress 0
		.amdhsa_shared_vgpr_count 0
		.amdhsa_exception_fp_ieee_invalid_op 0
		.amdhsa_exception_fp_denorm_src 0
		.amdhsa_exception_fp_ieee_div_zero 0
		.amdhsa_exception_fp_ieee_overflow 0
		.amdhsa_exception_fp_ieee_underflow 0
		.amdhsa_exception_fp_ieee_inexact 0
		.amdhsa_exception_int_div_zero 0
	.end_amdhsa_kernel
	.text
.Lfunc_end0:
	.size	bluestein_single_fwd_len5488_dim1_half_op_CI_CI, .Lfunc_end0-bluestein_single_fwd_len5488_dim1_half_op_CI_CI
                                        ; -- End function
	.section	.AMDGPU.csdata,"",@progbits
; Kernel info:
; codeLenInByte = 54108
; NumSgprs: 22
; NumVgprs: 256
; ScratchSize: 208
; MemoryBound: 0
; FloatMode: 240
; IeeeMode: 1
; LDSByteSize: 21952 bytes/workgroup (compile time only)
; SGPRBlocks: 2
; VGPRBlocks: 31
; NumSGPRsForWavesPerEU: 22
; NumVGPRsForWavesPerEU: 256
; Occupancy: 5
; WaveLimiterHint : 1
; COMPUTE_PGM_RSRC2:SCRATCH_EN: 1
; COMPUTE_PGM_RSRC2:USER_SGPR: 15
; COMPUTE_PGM_RSRC2:TRAP_HANDLER: 0
; COMPUTE_PGM_RSRC2:TGID_X_EN: 1
; COMPUTE_PGM_RSRC2:TGID_Y_EN: 0
; COMPUTE_PGM_RSRC2:TGID_Z_EN: 0
; COMPUTE_PGM_RSRC2:TIDIG_COMP_CNT: 0
	.text
	.p2alignl 7, 3214868480
	.fill 96, 4, 3214868480
	.type	__hip_cuid_fcca03773b59b3f1,@object ; @__hip_cuid_fcca03773b59b3f1
	.section	.bss,"aw",@nobits
	.globl	__hip_cuid_fcca03773b59b3f1
__hip_cuid_fcca03773b59b3f1:
	.byte	0                               ; 0x0
	.size	__hip_cuid_fcca03773b59b3f1, 1

	.ident	"AMD clang version 19.0.0git (https://github.com/RadeonOpenCompute/llvm-project roc-6.4.0 25133 c7fe45cf4b819c5991fe208aaa96edf142730f1d)"
	.section	".note.GNU-stack","",@progbits
	.addrsig
	.addrsig_sym __hip_cuid_fcca03773b59b3f1
	.amdgpu_metadata
---
amdhsa.kernels:
  - .args:
      - .actual_access:  read_only
        .address_space:  global
        .offset:         0
        .size:           8
        .value_kind:     global_buffer
      - .actual_access:  read_only
        .address_space:  global
        .offset:         8
        .size:           8
        .value_kind:     global_buffer
      - .actual_access:  read_only
        .address_space:  global
        .offset:         16
        .size:           8
        .value_kind:     global_buffer
      - .actual_access:  read_only
        .address_space:  global
        .offset:         24
        .size:           8
        .value_kind:     global_buffer
      - .actual_access:  read_only
        .address_space:  global
        .offset:         32
        .size:           8
        .value_kind:     global_buffer
      - .offset:         40
        .size:           8
        .value_kind:     by_value
      - .address_space:  global
        .offset:         48
        .size:           8
        .value_kind:     global_buffer
      - .address_space:  global
        .offset:         56
        .size:           8
        .value_kind:     global_buffer
      - .address_space:  global
        .offset:         64
        .size:           8
        .value_kind:     global_buffer
      - .address_space:  global
        .offset:         72
        .size:           8
        .value_kind:     global_buffer
      - .offset:         80
        .size:           4
        .value_kind:     by_value
      - .address_space:  global
        .offset:         88
        .size:           8
        .value_kind:     global_buffer
      - .address_space:  global
        .offset:         96
        .size:           8
        .value_kind:     global_buffer
    .group_segment_fixed_size: 21952
    .kernarg_segment_align: 8
    .kernarg_segment_size: 104
    .language:       OpenCL C
    .language_version:
      - 2
      - 0
    .max_flat_workgroup_size: 196
    .name:           bluestein_single_fwd_len5488_dim1_half_op_CI_CI
    .private_segment_fixed_size: 208
    .sgpr_count:     22
    .sgpr_spill_count: 0
    .symbol:         bluestein_single_fwd_len5488_dim1_half_op_CI_CI.kd
    .uniform_work_group_size: 1
    .uses_dynamic_stack: false
    .vgpr_count:     256
    .vgpr_spill_count: 51
    .wavefront_size: 32
    .workgroup_processor_mode: 1
amdhsa.target:   amdgcn-amd-amdhsa--gfx1100
amdhsa.version:
  - 1
  - 2
...

	.end_amdgpu_metadata
